;; amdgpu-corpus repo=ROCm/rocFFT kind=compiled arch=gfx906 opt=O3
	.text
	.amdgcn_target "amdgcn-amd-amdhsa--gfx906"
	.amdhsa_code_object_version 6
	.protected	bluestein_single_fwd_len1458_dim1_half_op_CI_CI ; -- Begin function bluestein_single_fwd_len1458_dim1_half_op_CI_CI
	.globl	bluestein_single_fwd_len1458_dim1_half_op_CI_CI
	.p2align	8
	.type	bluestein_single_fwd_len1458_dim1_half_op_CI_CI,@function
bluestein_single_fwd_len1458_dim1_half_op_CI_CI: ; @bluestein_single_fwd_len1458_dim1_half_op_CI_CI
; %bb.0:
	s_load_dwordx4 s[12:15], s[4:5], 0x28
	v_mul_u32_u24_e32 v3, 0x10e, v0
	v_add_u32_sdwa v1, s6, v3 dst_sel:DWORD dst_unused:UNUSED_PAD src0_sel:DWORD src1_sel:WORD_1
	v_mov_b32_e32 v2, 0
	s_waitcnt lgkmcnt(0)
	v_cmp_gt_u64_e32 vcc, s[12:13], v[1:2]
	s_and_saveexec_b64 s[0:1], vcc
	s_cbranch_execz .LBB0_2
; %bb.1:
	s_load_dwordx4 s[8:11], s[4:5], 0x18
	s_load_dwordx4 s[0:3], s[4:5], 0x0
	s_movk_i32 s7, 0xf3
	v_mul_lo_u16_sdwa v2, v3, s7 dst_sel:DWORD dst_unused:UNUSED_PAD src0_sel:WORD_1 src1_sel:DWORD
	v_sub_u16_e32 v28, v0, v2
	s_waitcnt lgkmcnt(0)
	s_load_dwordx4 s[16:19], s[8:9], 0x0
	v_lshlrev_b32_e32 v31, 2, v28
	v_add_u32_e32 v30, 0x780, v31
	v_add_u32_e32 v26, 0xf00, v31
	v_mov_b32_e32 v42, s3
	s_waitcnt lgkmcnt(0)
	v_mad_u64_u32 v[2:3], s[8:9], s18, v1, 0
	v_mad_u64_u32 v[4:5], s[8:9], s16, v28, 0
	v_mov_b32_e32 v0, v3
	s_mul_i32 s6, s17, 0x3cc
	v_mov_b32_e32 v3, v5
	v_mad_u64_u32 v[5:6], s[8:9], s19, v1, v[0:1]
	v_mad_u64_u32 v[6:7], s[8:9], s17, v28, v[3:4]
	v_mov_b32_e32 v3, v5
	v_lshlrev_b64 v[2:3], 2, v[2:3]
	v_mov_b32_e32 v0, s15
	v_mov_b32_e32 v5, v6
	v_add_co_u32_e32 v6, vcc, s14, v2
	v_addc_co_u32_e32 v0, vcc, v0, v3, vcc
	v_lshlrev_b64 v[2:3], 2, v[4:5]
	s_mul_hi_u32 s8, s16, 0x3cc
	v_add_co_u32_e32 v2, vcc, v6, v2
	v_addc_co_u32_e32 v3, vcc, v0, v3, vcc
	s_add_i32 s6, s8, s6
	s_mul_i32 s8, s16, 0x3cc
	global_load_dword v4, v[2:3], off
	v_mov_b32_e32 v0, s6
	v_add_co_u32_e32 v2, vcc, s8, v2
	v_addc_co_u32_e32 v3, vcc, v3, v0, vcc
	global_load_dword v5, v[2:3], off
	v_mov_b32_e32 v6, s6
	v_add_co_u32_e32 v2, vcc, s8, v2
	v_addc_co_u32_e32 v3, vcc, v3, v6, vcc
	global_load_dword v32, v31, s[0:1]
	global_load_dword v29, v31, s[0:1] offset:972
	global_load_dword v27, v31, s[0:1] offset:1944
	;; [unrolled: 1-line block ×4, first 2 shown]
	v_mov_b32_e32 v7, s6
	global_load_dword v6, v[2:3], off
	v_add_co_u32_e32 v2, vcc, s8, v2
	v_addc_co_u32_e32 v3, vcc, v3, v7, vcc
	v_mov_b32_e32 v8, s6
	global_load_dword v7, v[2:3], off
	v_add_co_u32_e32 v2, vcc, s8, v2
	v_addc_co_u32_e32 v3, vcc, v3, v8, vcc
	v_mov_b32_e32 v9, s6
	global_load_dword v8, v[2:3], off
	v_add_co_u32_e32 v2, vcc, s8, v2
	v_addc_co_u32_e32 v3, vcc, v3, v9, vcc
	v_mov_b32_e32 v0, s1
	v_add_co_u32_e32 v33, vcc, s0, v31
	s_movk_i32 s9, 0x1000
	v_addc_co_u32_e32 v34, vcc, 0, v0, vcc
	global_load_dword v9, v[2:3], off
	v_add_co_u32_e32 v2, vcc, s9, v33
	v_addc_co_u32_e32 v3, vcc, 0, v34, vcc
	global_load_dword v0, v[2:3], off offset:764
	s_load_dwordx4 s[8:11], s[10:11], 0x0
	s_movk_i32 s0, 0x3aee
	s_mov_b32 s6, 0xffff
	s_mov_b32 s1, 0xbaee3aee
	v_add_co_u32_e32 v16, vcc, s7, v28
	s_mov_b32 s7, 0xe38f
	s_movk_i32 s12, 0xff5e
	s_waitcnt vmcnt(11)
	v_lshrrev_b32_e32 v10, 16, v4
	s_waitcnt vmcnt(9)
	v_mul_f16_sdwa v11, v32, v4 dst_sel:DWORD dst_unused:UNUSED_PAD src0_sel:WORD_1 src1_sel:DWORD
	v_mul_f16_sdwa v12, v32, v10 dst_sel:DWORD dst_unused:UNUSED_PAD src0_sel:WORD_1 src1_sel:DWORD
	v_fma_f16 v10, v32, v10, -v11
	v_lshrrev_b32_e32 v11, 16, v5
	s_waitcnt vmcnt(8)
	v_mul_f16_sdwa v13, v29, v5 dst_sel:DWORD dst_unused:UNUSED_PAD src0_sel:WORD_1 src1_sel:DWORD
	v_fma_f16 v4, v32, v4, v12
	v_fma_f16 v12, v29, v11, -v13
	v_mul_f16_sdwa v11, v29, v11 dst_sel:DWORD dst_unused:UNUSED_PAD src0_sel:WORD_1 src1_sel:DWORD
	s_waitcnt vmcnt(4)
	v_lshrrev_b32_e32 v13, 16, v6
	v_mul_f16_sdwa v14, v27, v6 dst_sel:DWORD dst_unused:UNUSED_PAD src0_sel:WORD_1 src1_sel:DWORD
	v_pack_b32_f16 v4, v4, v10
	v_fma_f16 v5, v29, v5, v11
	v_fma_f16 v10, v27, v13, -v14
	v_mul_f16_sdwa v11, v27, v13 dst_sel:DWORD dst_unused:UNUSED_PAD src0_sel:WORD_1 src1_sel:DWORD
	s_waitcnt vmcnt(3)
	v_lshrrev_b32_e32 v13, 16, v7
	v_mul_f16_sdwa v14, v25, v7 dst_sel:DWORD dst_unused:UNUSED_PAD src0_sel:WORD_1 src1_sel:DWORD
	v_pack_b32_f16 v5, v5, v12
	v_mul_f16_sdwa v12, v25, v13 dst_sel:DWORD dst_unused:UNUSED_PAD src0_sel:WORD_1 src1_sel:DWORD
	v_fma_f16 v6, v27, v6, v11
	v_fma_f16 v11, v25, v13, -v14
	ds_write2_b32 v31, v4, v5 offset1:243
	v_fma_f16 v5, v25, v7, v12
	s_waitcnt vmcnt(2)
	v_lshrrev_b32_e32 v13, 16, v8
	v_pack_b32_f16 v4, v6, v10
	v_pack_b32_f16 v5, v5, v11
	v_mul_f16_sdwa v6, v24, v13 dst_sel:DWORD dst_unused:UNUSED_PAD src0_sel:WORD_1 src1_sel:DWORD
	ds_write2_b32 v30, v4, v5 offset0:6 offset1:249
	v_mul_f16_sdwa v4, v24, v8 dst_sel:DWORD dst_unused:UNUSED_PAD src0_sel:WORD_1 src1_sel:DWORD
	v_fma_f16 v6, v24, v8, v6
	v_fma_f16 v4, v24, v13, -v4
	s_waitcnt vmcnt(1)
	v_lshrrev_b32_e32 v5, 16, v9
	v_pack_b32_f16 v4, v6, v4
	s_waitcnt vmcnt(0)
	v_mul_f16_sdwa v6, v0, v5 dst_sel:DWORD dst_unused:UNUSED_PAD src0_sel:WORD_1 src1_sel:DWORD
	v_mul_f16_sdwa v7, v0, v9 dst_sel:DWORD dst_unused:UNUSED_PAD src0_sel:WORD_1 src1_sel:DWORD
	v_fma_f16 v6, v0, v9, v6
	v_fma_f16 v5, v0, v5, -v7
	v_pack_b32_f16 v5, v6, v5
	ds_write2_b32 v26, v4, v5 offset0:12 offset1:255
	s_waitcnt lgkmcnt(0)
	s_barrier
	ds_read2_b32 v[4:5], v31 offset1:243
	ds_read2_b32 v[6:7], v30 offset0:6 offset1:249
	ds_read2_b32 v[8:9], v26 offset0:12 offset1:255
	s_waitcnt lgkmcnt(0)
	s_barrier
	v_pk_add_f16 v10, v4, v6
	v_pk_add_f16 v12, v6, v8
	v_pk_add_f16 v6, v6, v8 neg_lo:[0,1] neg_hi:[0,1]
	v_pk_add_f16 v13, v7, v9
	v_pk_add_f16 v11, v5, v7
	v_pk_add_f16 v7, v7, v9 neg_lo:[0,1] neg_hi:[0,1]
	v_pk_fma_f16 v4, v12, 0.5, v4 op_sel_hi:[1,0,1] neg_lo:[1,0,0] neg_hi:[1,0,0]
	v_pk_fma_f16 v5, v13, 0.5, v5 op_sel_hi:[1,0,1] neg_lo:[1,0,0] neg_hi:[1,0,0]
	v_pk_mul_f16 v6, v6, s0 op_sel_hi:[1,0]
	v_pk_add_f16 v8, v10, v8
	v_pk_add_f16 v9, v11, v9
	v_pk_add_f16 v10, v4, v6 op_sel:[0,1] op_sel_hi:[1,0]
	v_pk_add_f16 v11, v4, v6 op_sel:[0,1] op_sel_hi:[1,0] neg_lo:[0,1] neg_hi:[0,1]
	v_pk_fma_f16 v4, v7, s0, v5 op_sel:[0,0,1] op_sel_hi:[1,0,0]
	v_pk_fma_f16 v5, v7, s0, v5 op_sel:[0,0,1] op_sel_hi:[1,0,0] neg_lo:[1,0,0] neg_hi:[1,0,0]
	v_lshrrev_b32_e32 v6, 16, v4
	v_mul_f16_e32 v7, 0x3aee, v5
	v_bfi_b32 v4, s6, v4, v5
	v_fma_f16 v12, v6, 0.5, v7
	v_mul_f16_e32 v6, 0xbaee, v6
	v_fma_f16 v13, v5, 0.5, v6
	v_pk_mul_f16 v5, v4, 0.5 op_sel_hi:[1,0]
	v_pk_fma_f16 v14, v4, s1, v5 op_sel:[0,0,1] op_sel_hi:[1,1,0] neg_lo:[0,0,1] neg_hi:[0,0,1]
	v_add_f16_e32 v4, v10, v12
	v_add_f16_sdwa v5, v11, v13 dst_sel:DWORD dst_unused:UNUSED_PAD src0_sel:WORD_1 src1_sel:DWORD
	v_pack_b32_f16 v5, v4, v5
	v_pk_add_f16 v4, v8, v9
	v_pk_add_f16 v7, v8, v9 neg_lo:[0,1] neg_hi:[0,1]
	v_bfi_b32 v6, s6, v11, v10
	v_mul_lo_u16_e32 v8, 6, v28
	v_pk_add_f16 v6, v6, v14
	v_lshlrev_b32_e32 v35, 2, v8
	ds_write2_b64 v35, v[4:5], v[6:7] offset1:1
	v_pack_b32_f16 v6, v13, v14
	v_sub_f16_e32 v4, v10, v12
	v_sub_f16_sdwa v5, v10, v14 dst_sel:DWORD dst_unused:UNUSED_PAD src0_sel:WORD_1 src1_sel:WORD_1
	v_pk_add_f16 v6, v11, v6 op_sel:[1,0] op_sel_hi:[0,1] neg_lo:[0,1] neg_hi:[0,1]
	v_alignbit_b32 v5, v5, v6, 16
	v_pack_b32_f16 v4, v4, v6
	s_movk_i32 s1, 0xab
	ds_write_b64 v35, v[4:5] offset:16
	v_mul_lo_u16_sdwa v4, v28, s1 dst_sel:DWORD dst_unused:UNUSED_PAD src0_sel:BYTE_0 src1_sel:DWORD
	v_lshrrev_b16_e32 v14, 10, v4
	v_mul_lo_u16_e32 v4, 6, v14
	v_sub_u16_e32 v4, v28, v4
	v_and_b32_e32 v15, 0xff, v4
	v_lshlrev_b32_e32 v4, 3, v15
	s_waitcnt lgkmcnt(0)
	s_barrier
	global_load_dwordx2 v[6:7], v4, s[2:3]
	s_mov_b32 s1, 0xaaab
	v_mul_u32_u24_sdwa v4, v16, s1 dst_sel:DWORD dst_unused:UNUSED_PAD src0_sel:WORD_0 src1_sel:DWORD
	v_lshrrev_b32_e32 v17, 18, v4
	v_mul_lo_u16_e32 v4, 6, v17
	v_sub_u16_e32 v18, v16, v4
	v_lshlrev_b16_e32 v4, 1, v18
	v_lshlrev_b32_e32 v4, 2, v4
	global_load_dwordx2 v[4:5], v4, s[2:3]
	ds_read2_b32 v[8:9], v30 offset0:6 offset1:249
	ds_read2_b32 v[10:11], v26 offset0:12 offset1:255
	ds_read2_b32 v[12:13], v31 offset1:243
	s_mov_b32 s1, 0xbaee
	s_waitcnt lgkmcnt(0)
	v_lshrrev_b32_e32 v19, 16, v8
	v_lshrrev_b32_e32 v20, 16, v10
	;; [unrolled: 1-line block ×3, first 2 shown]
	s_waitcnt vmcnt(0)
	s_barrier
	v_mul_f16_sdwa v22, v8, v6 dst_sel:DWORD dst_unused:UNUSED_PAD src0_sel:DWORD src1_sel:WORD_1
	v_fma_f16 v22, v19, v6, v22
	v_mul_f16_sdwa v19, v19, v6 dst_sel:DWORD dst_unused:UNUSED_PAD src0_sel:DWORD src1_sel:WORD_1
	v_mul_f16_sdwa v23, v10, v7 dst_sel:DWORD dst_unused:UNUSED_PAD src0_sel:DWORD src1_sel:WORD_1
	v_fma_f16 v8, v8, v6, -v19
	v_mul_f16_sdwa v19, v20, v7 dst_sel:DWORD dst_unused:UNUSED_PAD src0_sel:DWORD src1_sel:WORD_1
	v_fma_f16 v23, v20, v7, v23
	v_fma_f16 v10, v10, v7, -v19
	v_sub_f16_e32 v37, v22, v23
	v_add_f16_e32 v36, v21, v22
	v_add_f16_e32 v22, v22, v23
	;; [unrolled: 1-line block ×4, first 2 shown]
	v_fma_f16 v21, v22, -0.5, v21
	v_add_f16_e32 v19, v19, v10
	v_sub_f16_e32 v8, v8, v10
	v_mul_u32_u24_e32 v10, 18, v14
	v_fma_f16 v12, v20, -0.5, v12
	v_add_f16_e32 v23, v36, v23
	v_add_lshl_u32 v36, v10, v15, 2
	v_fma_f16 v14, v37, s0, v12
	v_fma_f16 v15, v8, s1, v21
	v_pack_b32_f16 v10, v19, v23
	v_pack_b32_f16 v14, v14, v15
	ds_write2_b32 v36, v10, v14 offset1:6
	v_lshrrev_b32_e32 v10, 16, v9
	v_mul_f16_sdwa v14, v10, v4 dst_sel:DWORD dst_unused:UNUSED_PAD src0_sel:DWORD src1_sel:WORD_1
	v_fma_f16 v14, v9, v4, -v14
	v_mul_f16_sdwa v9, v9, v4 dst_sel:DWORD dst_unused:UNUSED_PAD src0_sel:DWORD src1_sel:WORD_1
	v_fma_f16 v9, v10, v4, v9
	v_lshrrev_b32_e32 v10, 16, v11
	v_mul_f16_sdwa v15, v10, v5 dst_sel:DWORD dst_unused:UNUSED_PAD src0_sel:DWORD src1_sel:WORD_1
	v_fma_f16 v15, v11, v5, -v15
	v_mul_f16_sdwa v11, v11, v5 dst_sel:DWORD dst_unused:UNUSED_PAD src0_sel:DWORD src1_sel:WORD_1
	v_fma_f16 v10, v10, v5, v11
	v_fma_f16 v11, v37, s1, v12
	;; [unrolled: 1-line block ×3, first 2 shown]
	v_add_f16_e32 v12, v14, v15
	v_lshrrev_b32_e32 v19, 16, v13
	v_fma_f16 v12, v12, -0.5, v13
	v_add_f16_e32 v13, v13, v14
	v_add_f16_e32 v20, v19, v9
	v_sub_f16_e32 v21, v9, v10
	v_add_f16_e32 v9, v9, v10
	v_pack_b32_f16 v8, v11, v8
	v_add_f16_e32 v20, v20, v10
	v_fma_f16 v9, v9, -0.5, v19
	v_add_f16_e32 v10, v13, v15
	v_sub_f16_e32 v13, v14, v15
	ds_write_b32 v36, v8 offset:48
	v_mad_legacy_u16 v8, v17, 18, v18
	v_fma_f16 v14, v13, s1, v9
	v_lshlrev_b32_e32 v37, 2, v8
	v_fma_f16 v8, v21, s1, v12
	v_fma_f16 v9, v13, s0, v9
	v_pack_b32_f16 v8, v8, v9
	ds_write_b32 v37, v8 offset:48
	v_mov_b32_e32 v8, 57
	v_mul_lo_u16_sdwa v8, v28, v8 dst_sel:DWORD dst_unused:UNUSED_PAD src0_sel:BYTE_0 src1_sel:DWORD
	v_lshrrev_b16_e32 v19, 10, v8
	v_mul_lo_u16_e32 v8, 18, v19
	v_sub_u16_e32 v8, v28, v8
	v_pack_b32_f16 v10, v10, v20
	v_fma_f16 v11, v21, s0, v12
	v_and_b32_e32 v20, 0xff, v8
	v_pack_b32_f16 v11, v11, v14
	v_lshlrev_b32_e32 v8, 3, v20
	ds_write2_b32 v37, v10, v11 offset1:6
	s_waitcnt lgkmcnt(0)
	s_barrier
	global_load_dwordx2 v[10:11], v8, s[2:3] offset:48
	v_mul_u32_u24_sdwa v8, v16, s7 dst_sel:DWORD dst_unused:UNUSED_PAD src0_sel:WORD_0 src1_sel:DWORD
	v_lshrrev_b32_e32 v21, 20, v8
	v_mul_lo_u16_e32 v8, 18, v21
	v_sub_u16_e32 v22, v16, v8
	v_lshlrev_b16_e32 v8, 3, v22
	v_add_co_u32_e32 v8, vcc, s2, v8
	v_addc_co_u32_e32 v9, vcc, 0, v42, vcc
	global_load_dwordx2 v[8:9], v[8:9], off offset:48
	ds_read2_b32 v[12:13], v30 offset0:6 offset1:249
	ds_read2_b32 v[14:15], v26 offset0:12 offset1:255
	ds_read2_b32 v[17:18], v31 offset1:243
	s_waitcnt vmcnt(0) lgkmcnt(0)
	s_barrier
	v_lshrrev_b32_e32 v23, 16, v12
	v_lshrrev_b32_e32 v39, 16, v14
	v_lshrrev_b32_e32 v41, 16, v17
	s_movk_i32 s7, 0xa2
	v_mul_f16_sdwa v38, v12, v10 dst_sel:DWORD dst_unused:UNUSED_PAD src0_sel:DWORD src1_sel:WORD_1
	v_fma_f16 v38, v23, v10, v38
	v_mul_f16_sdwa v23, v23, v10 dst_sel:DWORD dst_unused:UNUSED_PAD src0_sel:DWORD src1_sel:WORD_1
	v_mul_f16_sdwa v40, v14, v11 dst_sel:DWORD dst_unused:UNUSED_PAD src0_sel:DWORD src1_sel:WORD_1
	v_fma_f16 v12, v12, v10, -v23
	v_mul_f16_sdwa v23, v39, v11 dst_sel:DWORD dst_unused:UNUSED_PAD src0_sel:DWORD src1_sel:WORD_1
	v_fma_f16 v40, v39, v11, v40
	v_fma_f16 v14, v14, v11, -v23
	v_add_f16_e32 v43, v41, v38
	v_sub_f16_e32 v44, v38, v40
	v_add_f16_e32 v38, v38, v40
	v_add_f16_e32 v23, v17, v12
	;; [unrolled: 1-line block ×4, first 2 shown]
	v_fma_f16 v40, v38, -0.5, v41
	v_add_f16_e32 v23, v23, v14
	v_sub_f16_e32 v12, v12, v14
	v_mul_u32_u24_e32 v14, 54, v19
	v_fma_f16 v17, v39, -0.5, v17
	v_add_lshl_u32 v38, v14, v20, 2
	v_fma_f16 v19, v44, s0, v17
	v_fma_f16 v20, v12, s1, v40
	v_pack_b32_f16 v14, v23, v43
	v_pack_b32_f16 v19, v19, v20
	ds_write2_b32 v38, v14, v19 offset1:18
	v_lshrrev_b32_e32 v14, 16, v13
	v_mul_f16_sdwa v19, v14, v8 dst_sel:DWORD dst_unused:UNUSED_PAD src0_sel:DWORD src1_sel:WORD_1
	v_fma_f16 v19, v13, v8, -v19
	v_mul_f16_sdwa v13, v13, v8 dst_sel:DWORD dst_unused:UNUSED_PAD src0_sel:DWORD src1_sel:WORD_1
	v_fma_f16 v13, v14, v8, v13
	v_lshrrev_b32_e32 v14, 16, v15
	v_mul_f16_sdwa v20, v14, v9 dst_sel:DWORD dst_unused:UNUSED_PAD src0_sel:DWORD src1_sel:WORD_1
	v_fma_f16 v20, v15, v9, -v20
	v_mul_f16_sdwa v15, v15, v9 dst_sel:DWORD dst_unused:UNUSED_PAD src0_sel:DWORD src1_sel:WORD_1
	v_fma_f16 v14, v14, v9, v15
	v_fma_f16 v15, v44, s1, v17
	;; [unrolled: 1-line block ×3, first 2 shown]
	v_add_f16_e32 v17, v19, v20
	v_lshrrev_b32_e32 v23, 16, v18
	v_fma_f16 v17, v17, -0.5, v18
	v_add_f16_e32 v18, v18, v19
	v_add_f16_e32 v39, v23, v13
	v_sub_f16_e32 v40, v13, v14
	v_add_f16_e32 v13, v13, v14
	v_pack_b32_f16 v12, v15, v12
	v_add_f16_e32 v39, v39, v14
	v_fma_f16 v13, v13, -0.5, v23
	v_add_f16_e32 v14, v18, v20
	v_sub_f16_e32 v18, v19, v20
	ds_write_b32 v38, v12 offset:144
	v_mad_legacy_u16 v12, v21, 54, v22
	v_pack_b32_f16 v14, v14, v39
	v_fma_f16 v19, v18, s1, v13
	v_lshlrev_b32_e32 v39, 2, v12
	v_fma_f16 v12, v40, s1, v17
	v_fma_f16 v13, v18, s0, v13
	v_pack_b32_f16 v12, v12, v13
	ds_write_b32 v39, v12 offset:144
	v_mov_b32_e32 v12, 19
	v_mul_lo_u16_sdwa v12, v28, v12 dst_sel:DWORD dst_unused:UNUSED_PAD src0_sel:BYTE_0 src1_sel:DWORD
	v_lshrrev_b16_e32 v23, 10, v12
	v_mul_lo_u16_e32 v12, 54, v23
	v_sub_u16_e32 v12, v28, v12
	v_fma_f16 v15, v40, s0, v17
	v_and_b32_e32 v40, 0xff, v12
	v_pack_b32_f16 v15, v15, v19
	v_lshlrev_b32_e32 v12, 3, v40
	ds_write2_b32 v39, v14, v15 offset1:18
	s_waitcnt lgkmcnt(0)
	s_barrier
	global_load_dwordx2 v[14:15], v12, s[2:3] offset:192
	v_lshrrev_b16_e32 v12, 1, v16
	v_mul_u32_u24_e32 v12, 0x97b5, v12
	v_lshrrev_b32_e32 v41, 20, v12
	v_mul_lo_u16_e32 v12, 54, v41
	v_sub_u16_e32 v43, v16, v12
	v_lshlrev_b16_e32 v12, 3, v43
	v_add_co_u32_e32 v12, vcc, s2, v12
	v_addc_co_u32_e32 v13, vcc, 0, v42, vcc
	global_load_dwordx2 v[12:13], v[12:13], off offset:192
	ds_read2_b32 v[17:18], v30 offset0:6 offset1:249
	ds_read2_b32 v[19:20], v26 offset0:12 offset1:255
	ds_read2_b32 v[21:22], v31 offset1:243
	s_waitcnt vmcnt(0) lgkmcnt(0)
	s_barrier
	v_lshrrev_b32_e32 v44, 16, v17
	v_lshrrev_b32_e32 v46, 16, v19
	;; [unrolled: 1-line block ×3, first 2 shown]
	v_mul_f16_sdwa v45, v17, v14 dst_sel:DWORD dst_unused:UNUSED_PAD src0_sel:DWORD src1_sel:WORD_1
	v_fma_f16 v45, v44, v14, v45
	v_mul_f16_sdwa v44, v44, v14 dst_sel:DWORD dst_unused:UNUSED_PAD src0_sel:DWORD src1_sel:WORD_1
	v_mul_f16_sdwa v47, v19, v15 dst_sel:DWORD dst_unused:UNUSED_PAD src0_sel:DWORD src1_sel:WORD_1
	v_fma_f16 v17, v17, v14, -v44
	v_mul_f16_sdwa v44, v46, v15 dst_sel:DWORD dst_unused:UNUSED_PAD src0_sel:DWORD src1_sel:WORD_1
	v_fma_f16 v47, v46, v15, v47
	v_fma_f16 v19, v19, v15, -v44
	v_add_f16_e32 v49, v48, v45
	v_sub_f16_e32 v50, v45, v47
	v_add_f16_e32 v45, v45, v47
	v_add_f16_e32 v44, v21, v17
	;; [unrolled: 1-line block ×4, first 2 shown]
	v_fma_f16 v45, v45, -0.5, v48
	v_add_f16_e32 v44, v44, v19
	v_sub_f16_e32 v17, v17, v19
	v_mul_u32_u24_e32 v19, 0xa2, v23
	v_fma_f16 v21, v46, -0.5, v21
	v_add_lshl_u32 v40, v19, v40, 2
	v_pack_b32_f16 v19, v44, v49
	v_fma_f16 v23, v50, s0, v21
	v_fma_f16 v44, v17, s1, v45
	v_pack_b32_f16 v23, v23, v44
	ds_write2_b32 v40, v19, v23 offset1:54
	v_lshrrev_b32_e32 v19, 16, v18
	v_mul_f16_sdwa v23, v19, v12 dst_sel:DWORD dst_unused:UNUSED_PAD src0_sel:DWORD src1_sel:WORD_1
	v_fma_f16 v23, v18, v12, -v23
	v_mul_f16_sdwa v18, v18, v12 dst_sel:DWORD dst_unused:UNUSED_PAD src0_sel:DWORD src1_sel:WORD_1
	v_fma_f16 v18, v19, v12, v18
	v_lshrrev_b32_e32 v19, 16, v20
	v_mul_f16_sdwa v44, v19, v13 dst_sel:DWORD dst_unused:UNUSED_PAD src0_sel:DWORD src1_sel:WORD_1
	v_fma_f16 v44, v20, v13, -v44
	v_mul_f16_sdwa v20, v20, v13 dst_sel:DWORD dst_unused:UNUSED_PAD src0_sel:DWORD src1_sel:WORD_1
	v_fma_f16 v19, v19, v13, v20
	v_fma_f16 v20, v50, s1, v21
	;; [unrolled: 1-line block ×3, first 2 shown]
	v_add_f16_e32 v21, v23, v44
	v_lshrrev_b32_e32 v45, 16, v22
	v_fma_f16 v21, v21, -0.5, v22
	v_add_f16_e32 v22, v22, v23
	v_add_f16_e32 v46, v45, v18
	v_sub_f16_e32 v47, v18, v19
	v_add_f16_e32 v18, v18, v19
	v_fma_f16 v45, v18, -0.5, v45
	v_add_f16_e32 v18, v22, v44
	v_sub_f16_e32 v22, v23, v44
	v_pack_b32_f16 v17, v20, v17
	v_add_f16_e32 v46, v46, v19
	ds_write_b32 v40, v17 offset:432
	v_mad_legacy_u16 v17, v41, s7, v43
	v_fma_f16 v19, v47, s0, v21
	v_fma_f16 v20, v22, s1, v45
	v_pack_b32_f16 v18, v18, v46
	v_pack_b32_f16 v19, v19, v20
	v_lshlrev_b32_e32 v41, 2, v17
	v_add_co_u32_e32 v17, vcc, s12, v28
	ds_write2_b32 v41, v18, v19 offset1:54
	v_addc_co_u32_e64 v18, s[12:13], 0, -1, vcc
	v_cmp_gt_u16_e32 vcc, s7, v28
	v_cndmask_b32_e64 v18, v18, 0, vcc
	v_cndmask_b32_e32 v17, v17, v28, vcc
	v_lshlrev_b64 v[18:19], 3, v[17:18]
	v_fma_f16 v20, v47, s1, v21
	v_add_co_u32_e32 v18, vcc, s2, v18
	v_fma_f16 v21, v22, s0, v45
	v_addc_co_u32_e32 v19, vcc, v42, v19, vcc
	v_pack_b32_f16 v20, v20, v21
	ds_write_b32 v41, v20 offset:432
	s_waitcnt lgkmcnt(0)
	s_barrier
	global_load_dwordx2 v[22:23], v[18:19], off offset:624
	s_movk_i32 s7, 0x6523
	v_mul_u32_u24_sdwa v18, v16, s7 dst_sel:DWORD dst_unused:UNUSED_PAD src0_sel:WORD_0 src1_sel:DWORD
	v_lshrrev_b32_e32 v47, 22, v18
	v_mul_lo_u16_e32 v18, 0xa2, v47
	v_sub_u16_e32 v48, v16, v18
	v_lshlrev_b16_e32 v18, 3, v48
	v_add_co_u32_e32 v18, vcc, s2, v18
	v_addc_co_u32_e32 v19, vcc, 0, v42, vcc
	global_load_dwordx2 v[20:21], v[18:19], off offset:624
	ds_read2_b32 v[18:19], v30 offset0:6 offset1:249
	ds_read2_b32 v[43:44], v26 offset0:12 offset1:255
	s_movk_i32 s7, 0xa1
	ds_read2_b32 v[45:46], v31 offset1:243
	v_mov_b32_e32 v42, 0x1e6
	v_cmp_lt_u16_e32 vcc, s7, v28
	v_cndmask_b32_e32 v42, 0, v42, vcc
	v_add_lshl_u32 v42, v17, v42, 2
	s_waitcnt lgkmcnt(2)
	v_lshrrev_b32_e32 v17, 16, v18
	s_waitcnt lgkmcnt(1)
	v_lshrrev_b32_e32 v50, 16, v43
	;; [unrolled: 2-line block ×3, first 2 shown]
	s_waitcnt vmcnt(0)
	s_barrier
	s_movk_i32 s7, 0x1e6
	v_lshlrev_b32_e32 v16, 3, v16
	v_mul_f16_sdwa v49, v18, v22 dst_sel:DWORD dst_unused:UNUSED_PAD src0_sel:DWORD src1_sel:WORD_1
	v_fma_f16 v49, v17, v22, v49
	v_mul_f16_sdwa v17, v17, v22 dst_sel:DWORD dst_unused:UNUSED_PAD src0_sel:DWORD src1_sel:WORD_1
	v_mul_f16_sdwa v51, v43, v23 dst_sel:DWORD dst_unused:UNUSED_PAD src0_sel:DWORD src1_sel:WORD_1
	v_fma_f16 v17, v18, v22, -v17
	v_mul_f16_sdwa v18, v50, v23 dst_sel:DWORD dst_unused:UNUSED_PAD src0_sel:DWORD src1_sel:WORD_1
	v_fma_f16 v51, v50, v23, v51
	v_add_f16_e32 v53, v52, v49
	v_fma_f16 v18, v43, v23, -v18
	v_add_f16_e32 v43, v45, v17
	v_add_f16_e32 v53, v53, v51
	v_sub_f16_e32 v54, v49, v51
	v_add_f16_e32 v49, v49, v51
	v_add_f16_e32 v43, v43, v18
	v_add_f16_e32 v50, v17, v18
	v_fma_f16 v49, v49, -0.5, v52
	v_sub_f16_e32 v17, v17, v18
	v_pack_b32_f16 v18, v43, v53
	v_fma_f16 v43, v50, -0.5, v45
	v_fma_f16 v45, v54, s0, v43
	v_fma_f16 v50, v17, s1, v49
	v_pack_b32_f16 v45, v45, v50
	ds_write2_b32 v42, v18, v45 offset1:162
	v_lshrrev_b32_e32 v18, 16, v19
	v_mul_f16_sdwa v45, v18, v20 dst_sel:DWORD dst_unused:UNUSED_PAD src0_sel:DWORD src1_sel:WORD_1
	v_fma_f16 v45, v19, v20, -v45
	v_mul_f16_sdwa v19, v19, v20 dst_sel:DWORD dst_unused:UNUSED_PAD src0_sel:DWORD src1_sel:WORD_1
	v_fma_f16 v18, v18, v20, v19
	v_lshrrev_b32_e32 v19, 16, v44
	v_mul_f16_sdwa v50, v19, v21 dst_sel:DWORD dst_unused:UNUSED_PAD src0_sel:DWORD src1_sel:WORD_1
	v_fma_f16 v50, v44, v21, -v50
	v_mul_f16_sdwa v44, v44, v21 dst_sel:DWORD dst_unused:UNUSED_PAD src0_sel:DWORD src1_sel:WORD_1
	v_fma_f16 v19, v19, v21, v44
	v_fma_f16 v17, v17, s0, v49
	v_lshrrev_b32_e32 v49, 16, v46
	v_fma_f16 v43, v54, s1, v43
	v_add_f16_e32 v44, v45, v50
	v_add_f16_e32 v51, v49, v18
	v_sub_f16_e32 v52, v18, v19
	v_add_f16_e32 v18, v18, v19
	v_fma_f16 v44, v44, -0.5, v46
	v_add_f16_e32 v46, v46, v45
	v_fma_f16 v18, v18, -0.5, v49
	v_sub_f16_e32 v45, v45, v50
	v_pack_b32_f16 v17, v43, v17
	v_add_f16_e32 v51, v51, v19
	v_add_f16_e32 v19, v46, v50
	ds_write_b32 v42, v17 offset:1296
	v_mad_legacy_u16 v17, v47, s7, v48
	v_fma_f16 v43, v52, s0, v44
	v_fma_f16 v46, v45, s1, v18
	v_pack_b32_f16 v46, v43, v46
	v_lshlrev_b32_e32 v43, 2, v17
	v_fma_f16 v17, v52, s1, v44
	v_fma_f16 v18, v45, s0, v18
	v_pack_b32_f16 v17, v17, v18
	v_pack_b32_f16 v19, v19, v51
	ds_write_b32 v43, v17 offset:1296
	v_lshlrev_b32_e32 v17, 3, v28
	ds_write2_b32 v43, v19, v46 offset1:162
	s_waitcnt lgkmcnt(0)
	s_barrier
	global_load_dwordx2 v[18:19], v17, s[2:3] offset:1920
	ds_read2_b32 v[44:45], v30 offset0:6 offset1:249
	global_load_dwordx2 v[16:17], v16, s[2:3] offset:1920
	s_movk_i32 s2, 0x16c8
	s_movk_i32 s7, 0x1ff
	s_waitcnt lgkmcnt(0)
	v_lshrrev_b32_e32 v46, 16, v44
	s_waitcnt vmcnt(1)
	v_mul_f16_sdwa v47, v44, v18 dst_sel:DWORD dst_unused:UNUSED_PAD src0_sel:DWORD src1_sel:WORD_1
	v_fma_f16 v48, v46, v18, v47
	v_mul_f16_sdwa v46, v46, v18 dst_sel:DWORD dst_unused:UNUSED_PAD src0_sel:DWORD src1_sel:WORD_1
	v_fma_f16 v49, v44, v18, -v46
	ds_read2_b32 v[46:47], v26 offset0:12 offset1:255
	v_lshrrev_b32_e32 v44, 16, v45
	s_waitcnt vmcnt(0)
	v_mul_f16_sdwa v50, v44, v16 dst_sel:DWORD dst_unused:UNUSED_PAD src0_sel:DWORD src1_sel:WORD_1
	v_fma_f16 v50, v45, v16, -v50
	v_mul_f16_sdwa v45, v45, v16 dst_sel:DWORD dst_unused:UNUSED_PAD src0_sel:DWORD src1_sel:WORD_1
	v_fma_f16 v51, v44, v16, v45
	s_waitcnt lgkmcnt(0)
	v_lshrrev_b32_e32 v44, 16, v46
	v_mul_f16_sdwa v45, v46, v19 dst_sel:DWORD dst_unused:UNUSED_PAD src0_sel:DWORD src1_sel:WORD_1
	v_fma_f16 v52, v44, v19, v45
	v_mul_f16_sdwa v44, v44, v19 dst_sel:DWORD dst_unused:UNUSED_PAD src0_sel:DWORD src1_sel:WORD_1
	v_fma_f16 v46, v46, v19, -v44
	ds_read2_b32 v[44:45], v31 offset1:243
	v_lshrrev_b32_e32 v53, 16, v47
	v_mul_f16_sdwa v54, v53, v17 dst_sel:DWORD dst_unused:UNUSED_PAD src0_sel:DWORD src1_sel:WORD_1
	v_fma_f16 v54, v47, v17, -v54
	v_mul_f16_sdwa v47, v47, v17 dst_sel:DWORD dst_unused:UNUSED_PAD src0_sel:DWORD src1_sel:WORD_1
	v_fma_f16 v47, v53, v17, v47
	v_add_f16_e32 v53, v49, v46
	s_waitcnt lgkmcnt(0)
	v_fma_f16 v53, v53, -0.5, v44
	v_sub_f16_e32 v55, v48, v52
	v_fma_f16 v56, v55, s0, v53
	v_fma_f16 v53, v55, s1, v53
	v_lshrrev_b32_e32 v55, 16, v44
	v_add_f16_e32 v57, v55, v48
	v_add_f16_e32 v48, v48, v52
	;; [unrolled: 1-line block ×3, first 2 shown]
	v_fma_f16 v48, v48, -0.5, v55
	v_add_f16_e32 v44, v44, v46
	v_sub_f16_e32 v46, v49, v46
	v_fma_f16 v49, v46, s1, v48
	v_fma_f16 v46, v46, s0, v48
	v_add_f16_e32 v57, v57, v52
	v_add_f16_e32 v48, v50, v54
	v_lshrrev_b32_e32 v52, 16, v45
	v_pack_b32_f16 v46, v53, v46
	v_fma_f16 v48, v48, -0.5, v45
	v_add_f16_e32 v45, v45, v50
	ds_write_b32 v31, v46 offset:3888
	v_add_f16_e32 v46, v52, v51
	v_add_f16_e32 v45, v45, v54
	;; [unrolled: 1-line block ×3, first 2 shown]
	v_pack_b32_f16 v44, v44, v57
	v_pack_b32_f16 v49, v56, v49
	;; [unrolled: 1-line block ×3, first 2 shown]
	v_add_f16_e32 v46, v51, v47
	ds_write_b32 v31, v49 offset:1944
	ds_write2_b32 v31, v44, v45 offset1:243
	v_sub_f16_e32 v44, v51, v47
	v_fma_f16 v46, v46, -0.5, v52
	v_sub_f16_e32 v47, v50, v54
	v_fma_f16 v45, v44, s0, v48
	v_fma_f16 v44, v44, s1, v48
	v_fma_f16 v48, v47, s1, v46
	v_fma_f16 v46, v47, s0, v46
	v_pack_b32_f16 v45, v45, v48
	v_pack_b32_f16 v44, v44, v46
	ds_write_b32 v31, v45 offset:2916
	ds_write_b32 v31, v44 offset:4860
	s_waitcnt lgkmcnt(0)
	s_barrier
	global_load_dword v44, v[2:3], off offset:1736
	v_add_co_u32_e32 v2, vcc, s2, v33
	v_addc_co_u32_e32 v3, vcc, 0, v34, vcc
	global_load_dword v45, v[2:3], off offset:972
	global_load_dword v46, v[2:3], off offset:1944
	;; [unrolled: 1-line block ×4, first 2 shown]
	s_movk_i32 s2, 0x2000
	v_add_co_u32_e32 v2, vcc, s2, v33
	v_addc_co_u32_e32 v3, vcc, 0, v34, vcc
	global_load_dword v33, v[2:3], off offset:2500
	ds_read2_b32 v[2:3], v31 offset1:243
	s_mov_b32 s2, 0xb8003800
	s_waitcnt lgkmcnt(0)
	v_lshrrev_b32_e32 v34, 16, v2
	s_waitcnt vmcnt(5)
	v_mul_f16_sdwa v49, v2, v44 dst_sel:DWORD dst_unused:UNUSED_PAD src0_sel:DWORD src1_sel:WORD_1
	v_fma_f16 v49, v34, v44, v49
	v_mul_f16_sdwa v34, v34, v44 dst_sel:DWORD dst_unused:UNUSED_PAD src0_sel:DWORD src1_sel:WORD_1
	v_fma_f16 v2, v2, v44, -v34
	v_lshrrev_b32_e32 v34, 16, v3
	s_waitcnt vmcnt(4)
	v_mul_f16_sdwa v44, v34, v45 dst_sel:DWORD dst_unused:UNUSED_PAD src0_sel:DWORD src1_sel:WORD_1
	v_fma_f16 v44, v3, v45, -v44
	v_mul_f16_sdwa v3, v3, v45 dst_sel:DWORD dst_unused:UNUSED_PAD src0_sel:DWORD src1_sel:WORD_1
	v_fma_f16 v3, v34, v45, v3
	v_pack_b32_f16 v2, v2, v49
	v_pack_b32_f16 v3, v44, v3
	ds_write2_b32 v31, v2, v3 offset1:243
	ds_read2_b32 v[2:3], v30 offset0:6 offset1:249
	s_waitcnt lgkmcnt(0)
	v_lshrrev_b32_e32 v34, 16, v2
	s_waitcnt vmcnt(3)
	v_mul_f16_sdwa v44, v2, v46 dst_sel:DWORD dst_unused:UNUSED_PAD src0_sel:DWORD src1_sel:WORD_1
	v_fma_f16 v44, v34, v46, v44
	v_mul_f16_sdwa v34, v34, v46 dst_sel:DWORD dst_unused:UNUSED_PAD src0_sel:DWORD src1_sel:WORD_1
	v_lshrrev_b32_e32 v45, 16, v3
	v_fma_f16 v34, v2, v46, -v34
	s_waitcnt vmcnt(2)
	v_mul_f16_sdwa v2, v45, v47 dst_sel:DWORD dst_unused:UNUSED_PAD src0_sel:DWORD src1_sel:WORD_1
	v_fma_f16 v46, v3, v47, -v2
	v_mul_f16_sdwa v49, v3, v47 dst_sel:DWORD dst_unused:UNUSED_PAD src0_sel:DWORD src1_sel:WORD_1
	ds_read2_b32 v[2:3], v26 offset0:12 offset1:255
	v_fma_f16 v45, v45, v47, v49
	v_pack_b32_f16 v34, v34, v44
	v_pack_b32_f16 v44, v46, v45
	ds_write2_b32 v30, v34, v44 offset0:6 offset1:249
	s_waitcnt lgkmcnt(1)
	v_lshrrev_b32_e32 v34, 16, v2
	s_waitcnt vmcnt(1)
	v_mul_f16_sdwa v44, v2, v48 dst_sel:DWORD dst_unused:UNUSED_PAD src0_sel:DWORD src1_sel:WORD_1
	v_fma_f16 v44, v34, v48, v44
	v_mul_f16_sdwa v34, v34, v48 dst_sel:DWORD dst_unused:UNUSED_PAD src0_sel:DWORD src1_sel:WORD_1
	v_fma_f16 v2, v2, v48, -v34
	v_lshrrev_b32_e32 v34, 16, v3
	s_waitcnt vmcnt(0)
	v_mul_f16_sdwa v45, v34, v33 dst_sel:DWORD dst_unused:UNUSED_PAD src0_sel:DWORD src1_sel:WORD_1
	v_fma_f16 v45, v3, v33, -v45
	v_mul_f16_sdwa v3, v3, v33 dst_sel:DWORD dst_unused:UNUSED_PAD src0_sel:DWORD src1_sel:WORD_1
	v_fma_f16 v3, v34, v33, v3
	v_pack_b32_f16 v2, v2, v44
	v_pack_b32_f16 v3, v45, v3
	ds_write2_b32 v26, v2, v3 offset0:12 offset1:255
	s_waitcnt lgkmcnt(0)
	s_barrier
	ds_read2_b32 v[2:3], v31 offset1:243
	ds_read2_b32 v[33:34], v30 offset0:6 offset1:249
	ds_read2_b32 v[44:45], v26 offset0:12 offset1:255
	s_waitcnt lgkmcnt(0)
	s_barrier
	v_pk_add_f16 v46, v2, v33
	v_pk_add_f16 v48, v33, v44
	;; [unrolled: 1-line block ×4, first 2 shown]
	v_pk_add_f16 v33, v33, v44 neg_lo:[0,1] neg_hi:[0,1]
	v_pk_add_f16 v34, v34, v45 neg_lo:[0,1] neg_hi:[0,1]
	v_pk_fma_f16 v2, v48, 0.5, v2 op_sel_hi:[1,0,1] neg_lo:[1,0,0] neg_hi:[1,0,0]
	v_pk_fma_f16 v3, v49, 0.5, v3 op_sel_hi:[1,0,1] neg_lo:[1,0,0] neg_hi:[1,0,0]
	v_pk_add_f16 v44, v46, v44
	v_pk_add_f16 v45, v47, v45
	v_pk_fma_f16 v46, v33, s0, v2 op_sel:[0,0,1] op_sel_hi:[1,0,0] neg_lo:[1,0,0] neg_hi:[1,0,0]
	v_pk_fma_f16 v47, v33, s0, v2 op_sel:[0,0,1] op_sel_hi:[1,0,0]
	v_pk_fma_f16 v2, v34, s0, v3 op_sel:[0,0,1] op_sel_hi:[1,0,0]
	v_pk_fma_f16 v3, v34, s0, v3 op_sel:[0,0,1] op_sel_hi:[1,0,0] neg_lo:[1,0,0] neg_hi:[1,0,0]
	v_lshrrev_b32_e32 v33, 16, v3
	v_mul_f16_e32 v34, 0xbaee, v2
	v_fma_f16 v48, v33, 0.5, v34
	v_pk_mul_f16 v33, v3, s0 op_sel_hi:[1,0]
	v_pk_fma_f16 v49, v2, s2, v33 op_sel:[0,0,1] op_sel_hi:[1,1,0]
	v_pk_fma_f16 v50, v2, s2, v33 op_sel:[0,0,1] op_sel_hi:[1,1,0] neg_lo:[0,0,1] neg_hi:[0,0,1]
	v_lshrrev_b32_e32 v2, 16, v2
	v_mul_f16_e32 v3, -0.5, v3
	v_fma_f16 v51, v2, s0, v3
	v_bfi_b32 v2, s6, v49, v50
	v_pk_add_f16 v34, v47, v2
	v_add_f16_e32 v2, v46, v51
	v_pk_add_f16 v3, v44, v45 neg_lo:[0,1] neg_hi:[0,1]
	v_pk_add_f16 v33, v44, v45
	v_add_f16_sdwa v44, v46, v48 dst_sel:DWORD dst_unused:UNUSED_PAD src0_sel:WORD_1 src1_sel:DWORD
	v_alignbit_b32 v2, v2, v34, 16
	v_pack_b32_f16 v34, v44, v34
	ds_write2_b64 v35, v[33:34], v[2:3] offset1:1
	v_pack_b32_f16 v2, v48, v49
	v_alignbit_b32 v3, v47, v46, 16
	v_alignbit_b32 v33, v46, v47, 16
	;; [unrolled: 1-line block ×3, first 2 shown]
	v_pk_add_f16 v2, v3, v2 neg_lo:[0,1] neg_hi:[0,1]
	v_pk_add_f16 v3, v33, v34 neg_lo:[0,1] neg_hi:[0,1]
	ds_write_b64 v35, v[2:3] offset:16
	s_waitcnt lgkmcnt(0)
	s_barrier
	ds_read2_b32 v[2:3], v30 offset0:6 offset1:249
	ds_read2_b32 v[33:34], v26 offset0:12 offset1:255
	s_mov_b32 s2, 0xe0bf08c7
	s_mov_b32 s3, 0x3f467980
	s_movk_i32 s6, 0xffe
	s_waitcnt lgkmcnt(1)
	v_lshrrev_b32_e32 v35, 16, v2
	v_mul_f16_sdwa v44, v6, v2 dst_sel:DWORD dst_unused:UNUSED_PAD src0_sel:WORD_1 src1_sel:DWORD
	v_fma_f16 v44, v6, v35, -v44
	v_mul_f16_sdwa v35, v6, v35 dst_sel:DWORD dst_unused:UNUSED_PAD src0_sel:WORD_1 src1_sel:DWORD
	v_fma_f16 v6, v6, v2, v35
	s_waitcnt lgkmcnt(0)
	v_lshrrev_b32_e32 v2, 16, v33
	v_mul_f16_sdwa v35, v7, v33 dst_sel:DWORD dst_unused:UNUSED_PAD src0_sel:WORD_1 src1_sel:DWORD
	v_fma_f16 v35, v7, v2, -v35
	v_mul_f16_sdwa v2, v7, v2 dst_sel:DWORD dst_unused:UNUSED_PAD src0_sel:WORD_1 src1_sel:DWORD
	v_fma_f16 v7, v7, v33, v2
	v_lshrrev_b32_e32 v2, 16, v3
	v_mul_f16_sdwa v33, v4, v2 dst_sel:DWORD dst_unused:UNUSED_PAD src0_sel:WORD_1 src1_sel:DWORD
	v_fma_f16 v33, v4, v3, v33
	v_mul_f16_sdwa v3, v4, v3 dst_sel:DWORD dst_unused:UNUSED_PAD src0_sel:WORD_1 src1_sel:DWORD
	v_fma_f16 v4, v4, v2, -v3
	ds_read2_b32 v[2:3], v31 offset1:243
	v_lshrrev_b32_e32 v45, 16, v34
	v_mul_f16_sdwa v46, v5, v45 dst_sel:DWORD dst_unused:UNUSED_PAD src0_sel:WORD_1 src1_sel:DWORD
	v_fma_f16 v46, v5, v34, v46
	v_mul_f16_sdwa v34, v5, v34 dst_sel:DWORD dst_unused:UNUSED_PAD src0_sel:WORD_1 src1_sel:DWORD
	v_fma_f16 v5, v5, v45, -v34
	s_waitcnt lgkmcnt(0)
	v_lshrrev_b32_e32 v34, 16, v2
	v_add_f16_e32 v45, v34, v44
	v_add_f16_e32 v45, v45, v35
	v_sub_f16_e32 v47, v44, v35
	v_add_f16_e32 v35, v44, v35
	v_fma_f16 v34, v35, -0.5, v34
	v_add_f16_e32 v35, v2, v6
	v_add_f16_e32 v44, v6, v7
	;; [unrolled: 1-line block ×3, first 2 shown]
	v_sub_f16_e32 v6, v6, v7
	v_fma_f16 v2, v44, -0.5, v2
	v_pack_b32_f16 v7, v35, v45
	v_fma_f16 v35, v47, s1, v2
	v_fma_f16 v44, v6, s0, v34
	;; [unrolled: 1-line block ×4, first 2 shown]
	v_pack_b32_f16 v2, v2, v6
	v_pack_b32_f16 v35, v35, v44
	s_barrier
	ds_write_b32 v36, v2 offset:48
	v_add_f16_e32 v2, v33, v46
	v_lshrrev_b32_e32 v6, 16, v3
	ds_write2_b32 v36, v7, v35 offset1:6
	v_fma_f16 v2, v2, -0.5, v3
	v_add_f16_e32 v3, v3, v33
	v_add_f16_e32 v7, v6, v4
	v_sub_f16_e32 v34, v4, v5
	v_add_f16_e32 v4, v4, v5
	v_add_f16_e32 v7, v7, v5
	v_fma_f16 v4, v4, -0.5, v6
	v_add_f16_e32 v3, v3, v46
	v_sub_f16_e32 v5, v33, v46
	v_pack_b32_f16 v3, v3, v7
	v_fma_f16 v6, v34, s1, v2
	v_fma_f16 v7, v5, s0, v4
	v_pack_b32_f16 v6, v6, v7
	ds_write2_b32 v37, v3, v6 offset1:6
	v_fma_f16 v2, v34, s0, v2
	v_fma_f16 v3, v5, s1, v4
	v_pack_b32_f16 v2, v2, v3
	ds_write_b32 v37, v2 offset:48
	s_waitcnt lgkmcnt(0)
	s_barrier
	ds_read2_b32 v[2:3], v30 offset0:6 offset1:249
	ds_read2_b32 v[4:5], v26 offset0:12 offset1:255
	s_waitcnt lgkmcnt(1)
	v_lshrrev_b32_e32 v6, 16, v2
	v_mul_f16_sdwa v7, v10, v2 dst_sel:DWORD dst_unused:UNUSED_PAD src0_sel:WORD_1 src1_sel:DWORD
	v_fma_f16 v7, v10, v6, -v7
	v_mul_f16_sdwa v6, v10, v6 dst_sel:DWORD dst_unused:UNUSED_PAD src0_sel:WORD_1 src1_sel:DWORD
	v_fma_f16 v6, v10, v2, v6
	s_waitcnt lgkmcnt(0)
	v_lshrrev_b32_e32 v2, 16, v4
	v_mul_f16_sdwa v10, v11, v4 dst_sel:DWORD dst_unused:UNUSED_PAD src0_sel:WORD_1 src1_sel:DWORD
	v_fma_f16 v10, v11, v2, -v10
	v_mul_f16_sdwa v2, v11, v2 dst_sel:DWORD dst_unused:UNUSED_PAD src0_sel:WORD_1 src1_sel:DWORD
	v_fma_f16 v4, v11, v4, v2
	v_lshrrev_b32_e32 v2, 16, v3
	v_mul_f16_sdwa v11, v8, v2 dst_sel:DWORD dst_unused:UNUSED_PAD src0_sel:WORD_1 src1_sel:DWORD
	v_fma_f16 v11, v8, v3, v11
	v_mul_f16_sdwa v3, v8, v3 dst_sel:DWORD dst_unused:UNUSED_PAD src0_sel:WORD_1 src1_sel:DWORD
	v_fma_f16 v8, v8, v2, -v3
	ds_read2_b32 v[2:3], v31 offset1:243
	v_lshrrev_b32_e32 v33, 16, v5
	v_mul_f16_sdwa v34, v9, v33 dst_sel:DWORD dst_unused:UNUSED_PAD src0_sel:WORD_1 src1_sel:DWORD
	v_fma_f16 v34, v9, v5, v34
	v_mul_f16_sdwa v5, v9, v5 dst_sel:DWORD dst_unused:UNUSED_PAD src0_sel:WORD_1 src1_sel:DWORD
	v_fma_f16 v5, v9, v33, -v5
	s_waitcnt lgkmcnt(0)
	v_lshrrev_b32_e32 v9, 16, v2
	v_add_f16_e32 v33, v9, v7
	v_sub_f16_e32 v35, v7, v10
	v_add_f16_e32 v7, v7, v10
	v_add_f16_e32 v33, v33, v10
	v_fma_f16 v7, v7, -0.5, v9
	v_add_f16_e32 v9, v2, v6
	v_add_f16_e32 v10, v6, v4
	;; [unrolled: 1-line block ×3, first 2 shown]
	v_sub_f16_e32 v4, v6, v4
	v_fma_f16 v2, v10, -0.5, v2
	v_pack_b32_f16 v6, v9, v33
	v_fma_f16 v9, v35, s1, v2
	v_fma_f16 v10, v4, s0, v7
	;; [unrolled: 1-line block ×4, first 2 shown]
	v_pack_b32_f16 v9, v9, v10
	v_pack_b32_f16 v2, v2, v4
	v_lshrrev_b32_e32 v4, 16, v3
	s_barrier
	ds_write2_b32 v38, v6, v9 offset1:18
	ds_write_b32 v38, v2 offset:144
	v_add_f16_e32 v2, v11, v34
	v_add_f16_e32 v6, v4, v8
	v_fma_f16 v2, v2, -0.5, v3
	v_add_f16_e32 v3, v3, v11
	v_add_f16_e32 v6, v6, v5
	v_sub_f16_e32 v7, v8, v5
	v_add_f16_e32 v5, v8, v5
	v_fma_f16 v4, v5, -0.5, v4
	v_add_f16_e32 v3, v3, v34
	v_sub_f16_e32 v5, v11, v34
	v_pack_b32_f16 v3, v3, v6
	v_fma_f16 v6, v7, s1, v2
	v_fma_f16 v8, v5, s0, v4
	v_pack_b32_f16 v6, v6, v8
	ds_write2_b32 v39, v3, v6 offset1:18
	v_fma_f16 v2, v7, s0, v2
	v_fma_f16 v3, v5, s1, v4
	v_pack_b32_f16 v2, v2, v3
	ds_write_b32 v39, v2 offset:144
	s_waitcnt lgkmcnt(0)
	s_barrier
	ds_read2_b32 v[2:3], v30 offset0:6 offset1:249
	ds_read2_b32 v[4:5], v26 offset0:12 offset1:255
	s_waitcnt lgkmcnt(1)
	v_lshrrev_b32_e32 v6, 16, v2
	v_mul_f16_sdwa v7, v14, v2 dst_sel:DWORD dst_unused:UNUSED_PAD src0_sel:WORD_1 src1_sel:DWORD
	v_fma_f16 v7, v14, v6, -v7
	v_mul_f16_sdwa v6, v14, v6 dst_sel:DWORD dst_unused:UNUSED_PAD src0_sel:WORD_1 src1_sel:DWORD
	v_fma_f16 v6, v14, v2, v6
	s_waitcnt lgkmcnt(0)
	v_lshrrev_b32_e32 v2, 16, v4
	v_mul_f16_sdwa v8, v15, v4 dst_sel:DWORD dst_unused:UNUSED_PAD src0_sel:WORD_1 src1_sel:DWORD
	v_fma_f16 v8, v15, v2, -v8
	v_mul_f16_sdwa v2, v15, v2 dst_sel:DWORD dst_unused:UNUSED_PAD src0_sel:WORD_1 src1_sel:DWORD
	v_fma_f16 v4, v15, v4, v2
	v_lshrrev_b32_e32 v2, 16, v3
	v_mul_f16_sdwa v9, v12, v2 dst_sel:DWORD dst_unused:UNUSED_PAD src0_sel:WORD_1 src1_sel:DWORD
	v_fma_f16 v9, v12, v3, v9
	v_mul_f16_sdwa v3, v12, v3 dst_sel:DWORD dst_unused:UNUSED_PAD src0_sel:WORD_1 src1_sel:DWORD
	v_fma_f16 v10, v12, v2, -v3
	ds_read2_b32 v[2:3], v31 offset1:243
	v_lshrrev_b32_e32 v11, 16, v5
	v_mul_f16_sdwa v12, v13, v11 dst_sel:DWORD dst_unused:UNUSED_PAD src0_sel:WORD_1 src1_sel:DWORD
	v_fma_f16 v12, v13, v5, v12
	v_mul_f16_sdwa v5, v13, v5 dst_sel:DWORD dst_unused:UNUSED_PAD src0_sel:WORD_1 src1_sel:DWORD
	v_fma_f16 v5, v13, v11, -v5
	s_waitcnt lgkmcnt(0)
	v_lshrrev_b32_e32 v11, 16, v2
	v_add_f16_e32 v13, v11, v7
	v_sub_f16_e32 v14, v7, v8
	v_add_f16_e32 v7, v7, v8
	v_add_f16_e32 v13, v13, v8
	v_fma_f16 v7, v7, -0.5, v11
	v_add_f16_e32 v8, v2, v6
	v_add_f16_e32 v11, v6, v4
	;; [unrolled: 1-line block ×3, first 2 shown]
	v_sub_f16_e32 v4, v6, v4
	v_fma_f16 v2, v11, -0.5, v2
	v_pack_b32_f16 v6, v8, v13
	v_fma_f16 v8, v14, s1, v2
	v_fma_f16 v11, v4, s0, v7
	;; [unrolled: 1-line block ×4, first 2 shown]
	v_pack_b32_f16 v8, v8, v11
	v_pack_b32_f16 v2, v2, v4
	v_lshrrev_b32_e32 v4, 16, v3
	s_barrier
	ds_write2_b32 v40, v6, v8 offset1:54
	ds_write_b32 v40, v2 offset:432
	v_add_f16_e32 v2, v9, v12
	v_add_f16_e32 v6, v4, v10
	v_fma_f16 v2, v2, -0.5, v3
	v_add_f16_e32 v3, v3, v9
	v_add_f16_e32 v6, v6, v5
	v_sub_f16_e32 v7, v10, v5
	v_add_f16_e32 v5, v10, v5
	v_fma_f16 v4, v5, -0.5, v4
	v_add_f16_e32 v3, v3, v12
	v_sub_f16_e32 v5, v9, v12
	v_pack_b32_f16 v3, v3, v6
	v_fma_f16 v6, v7, s1, v2
	v_fma_f16 v8, v5, s0, v4
	v_pack_b32_f16 v6, v6, v8
	ds_write2_b32 v41, v3, v6 offset1:54
	v_fma_f16 v2, v7, s0, v2
	v_fma_f16 v3, v5, s1, v4
	v_pack_b32_f16 v2, v2, v3
	ds_write_b32 v41, v2 offset:432
	s_waitcnt lgkmcnt(0)
	s_barrier
	ds_read2_b32 v[2:3], v30 offset0:6 offset1:249
	ds_read2_b32 v[4:5], v26 offset0:12 offset1:255
	s_waitcnt lgkmcnt(1)
	v_lshrrev_b32_e32 v6, 16, v2
	v_mul_f16_sdwa v7, v22, v2 dst_sel:DWORD dst_unused:UNUSED_PAD src0_sel:WORD_1 src1_sel:DWORD
	v_fma_f16 v7, v22, v6, -v7
	v_mul_f16_sdwa v6, v22, v6 dst_sel:DWORD dst_unused:UNUSED_PAD src0_sel:WORD_1 src1_sel:DWORD
	v_fma_f16 v6, v22, v2, v6
	s_waitcnt lgkmcnt(0)
	v_lshrrev_b32_e32 v2, 16, v4
	v_mul_f16_sdwa v8, v23, v4 dst_sel:DWORD dst_unused:UNUSED_PAD src0_sel:WORD_1 src1_sel:DWORD
	v_fma_f16 v8, v23, v2, -v8
	v_mul_f16_sdwa v2, v23, v2 dst_sel:DWORD dst_unused:UNUSED_PAD src0_sel:WORD_1 src1_sel:DWORD
	v_fma_f16 v4, v23, v4, v2
	v_lshrrev_b32_e32 v2, 16, v3
	v_mul_f16_sdwa v9, v20, v2 dst_sel:DWORD dst_unused:UNUSED_PAD src0_sel:WORD_1 src1_sel:DWORD
	v_fma_f16 v9, v20, v3, v9
	v_mul_f16_sdwa v3, v20, v3 dst_sel:DWORD dst_unused:UNUSED_PAD src0_sel:WORD_1 src1_sel:DWORD
	v_fma_f16 v10, v20, v2, -v3
	ds_read2_b32 v[2:3], v31 offset1:243
	v_lshrrev_b32_e32 v11, 16, v5
	v_mul_f16_sdwa v12, v21, v11 dst_sel:DWORD dst_unused:UNUSED_PAD src0_sel:WORD_1 src1_sel:DWORD
	v_fma_f16 v12, v21, v5, v12
	v_mul_f16_sdwa v5, v21, v5 dst_sel:DWORD dst_unused:UNUSED_PAD src0_sel:WORD_1 src1_sel:DWORD
	v_fma_f16 v5, v21, v11, -v5
	s_waitcnt lgkmcnt(0)
	v_lshrrev_b32_e32 v11, 16, v2
	v_add_f16_e32 v13, v11, v7
	v_sub_f16_e32 v14, v7, v8
	v_add_f16_e32 v7, v7, v8
	v_add_f16_e32 v13, v13, v8
	v_fma_f16 v7, v7, -0.5, v11
	v_add_f16_e32 v8, v2, v6
	v_add_f16_e32 v11, v6, v4
	;; [unrolled: 1-line block ×3, first 2 shown]
	v_sub_f16_e32 v4, v6, v4
	v_fma_f16 v2, v11, -0.5, v2
	v_pack_b32_f16 v6, v8, v13
	v_fma_f16 v8, v14, s1, v2
	v_fma_f16 v11, v4, s0, v7
	;; [unrolled: 1-line block ×4, first 2 shown]
	v_pack_b32_f16 v8, v8, v11
	v_pack_b32_f16 v2, v2, v4
	v_lshrrev_b32_e32 v4, 16, v3
	s_barrier
	ds_write2_b32 v42, v6, v8 offset1:162
	ds_write_b32 v42, v2 offset:1296
	v_add_f16_e32 v2, v9, v12
	v_add_f16_e32 v6, v4, v10
	v_fma_f16 v2, v2, -0.5, v3
	v_add_f16_e32 v3, v3, v9
	v_add_f16_e32 v6, v6, v5
	v_sub_f16_e32 v7, v10, v5
	v_add_f16_e32 v5, v10, v5
	v_fma_f16 v4, v5, -0.5, v4
	v_add_f16_e32 v3, v3, v12
	v_sub_f16_e32 v5, v9, v12
	v_pack_b32_f16 v3, v3, v6
	v_fma_f16 v6, v7, s1, v2
	v_fma_f16 v8, v5, s0, v4
	v_pack_b32_f16 v6, v6, v8
	ds_write2_b32 v43, v3, v6 offset1:162
	v_fma_f16 v2, v7, s0, v2
	v_fma_f16 v3, v5, s1, v4
	v_pack_b32_f16 v2, v2, v3
	ds_write_b32 v43, v2 offset:1296
	s_waitcnt lgkmcnt(0)
	s_barrier
	ds_read2_b32 v[2:3], v30 offset0:6 offset1:249
	ds_read2_b32 v[4:5], v26 offset0:12 offset1:255
	s_waitcnt lgkmcnt(1)
	v_lshrrev_b32_e32 v6, 16, v2
	v_mul_f16_sdwa v7, v18, v2 dst_sel:DWORD dst_unused:UNUSED_PAD src0_sel:WORD_1 src1_sel:DWORD
	v_fma_f16 v7, v18, v6, -v7
	v_mul_f16_sdwa v6, v18, v6 dst_sel:DWORD dst_unused:UNUSED_PAD src0_sel:WORD_1 src1_sel:DWORD
	v_fma_f16 v6, v18, v2, v6
	s_waitcnt lgkmcnt(0)
	v_lshrrev_b32_e32 v2, 16, v4
	v_mul_f16_sdwa v8, v19, v4 dst_sel:DWORD dst_unused:UNUSED_PAD src0_sel:WORD_1 src1_sel:DWORD
	v_fma_f16 v8, v19, v2, -v8
	v_mul_f16_sdwa v2, v19, v2 dst_sel:DWORD dst_unused:UNUSED_PAD src0_sel:WORD_1 src1_sel:DWORD
	v_fma_f16 v4, v19, v4, v2
	v_lshrrev_b32_e32 v2, 16, v3
	v_mul_f16_sdwa v9, v16, v2 dst_sel:DWORD dst_unused:UNUSED_PAD src0_sel:WORD_1 src1_sel:DWORD
	v_fma_f16 v9, v16, v3, v9
	v_mul_f16_sdwa v3, v16, v3 dst_sel:DWORD dst_unused:UNUSED_PAD src0_sel:WORD_1 src1_sel:DWORD
	v_fma_f16 v10, v16, v2, -v3
	ds_read2_b32 v[2:3], v31 offset1:243
	v_lshrrev_b32_e32 v11, 16, v5
	v_mul_f16_sdwa v12, v17, v11 dst_sel:DWORD dst_unused:UNUSED_PAD src0_sel:WORD_1 src1_sel:DWORD
	v_fma_f16 v12, v17, v5, v12
	v_mul_f16_sdwa v5, v17, v5 dst_sel:DWORD dst_unused:UNUSED_PAD src0_sel:WORD_1 src1_sel:DWORD
	v_fma_f16 v5, v17, v11, -v5
	v_add_f16_e32 v11, v6, v4
	s_waitcnt lgkmcnt(0)
	v_fma_f16 v11, v11, -0.5, v2
	v_sub_f16_e32 v13, v7, v8
	v_fma_f16 v14, v13, s1, v11
	v_fma_f16 v11, v13, s0, v11
	v_lshrrev_b32_e32 v13, 16, v2
	v_add_f16_e32 v15, v13, v7
	v_add_f16_e32 v7, v7, v8
	;; [unrolled: 1-line block ×3, first 2 shown]
	v_fma_f16 v7, v7, -0.5, v13
	v_add_f16_e32 v2, v2, v4
	v_sub_f16_e32 v4, v6, v4
	v_fma_f16 v6, v4, s0, v7
	v_fma_f16 v4, v4, s1, v7
	v_add_f16_e32 v7, v9, v12
	v_add_f16_e32 v15, v15, v8
	v_fma_f16 v7, v7, -0.5, v3
	v_lshrrev_b32_e32 v8, 16, v3
	v_sub_f16_e32 v13, v10, v5
	v_fma_f16 v16, v13, s1, v7
	v_fma_f16 v7, v13, s0, v7
	v_add_f16_e32 v13, v8, v10
	v_add_f16_e32 v3, v3, v9
	;; [unrolled: 1-line block ×4, first 2 shown]
	v_fma_f16 v5, v5, -0.5, v8
	v_add_f16_e32 v3, v3, v12
	v_sub_f16_e32 v8, v9, v12
	v_fma_f16 v9, v8, s0, v5
	v_pack_b32_f16 v2, v2, v15
	v_pack_b32_f16 v6, v14, v6
	;; [unrolled: 1-line block ×4, first 2 shown]
	v_fma_f16 v5, v8, s1, v5
	ds_write_b32 v31, v6 offset:1944
	ds_write_b32 v31, v4 offset:3888
	ds_write2_b32 v31, v2, v3 offset1:243
	v_pack_b32_f16 v2, v16, v9
	ds_write_b32 v31, v2 offset:2916
	v_pack_b32_f16 v2, v7, v5
	ds_write_b32 v31, v2 offset:4860
	s_waitcnt lgkmcnt(0)
	s_barrier
	ds_read2_b32 v[2:3], v31 offset1:243
	v_mad_u64_u32 v[4:5], s[0:1], s10, v1, 0
	s_movk_i32 s10, 0x40f
	s_waitcnt lgkmcnt(0)
	v_lshrrev_b32_e32 v10, 16, v2
	v_mul_f16_sdwa v6, v32, v2 dst_sel:DWORD dst_unused:UNUSED_PAD src0_sel:WORD_1 src1_sel:DWORD
	v_fma_f16 v6, v32, v10, -v6
	v_cvt_f32_f16_e32 v6, v6
	v_cvt_f64_f32_e32 v[6:7], v6
	v_mad_u64_u32 v[8:9], s[0:1], s11, v1, v[5:6]
	v_mul_f16_sdwa v1, v32, v10 dst_sel:DWORD dst_unused:UNUSED_PAD src0_sel:WORD_1 src1_sel:DWORD
	v_fma_f16 v1, v32, v2, v1
	v_cvt_f32_f16_e32 v1, v1
	v_mul_f64 v[6:7], v[6:7], s[2:3]
	v_mov_b32_e32 v5, v8
	s_mov_b32 s11, 0x8000
	v_cvt_f64_f32_e32 v[1:2], v1
	v_lshlrev_b64 v[4:5], 2, v[4:5]
	v_mul_f64 v[1:2], v[1:2], s[2:3]
	v_and_or_b32 v6, v7, s7, v6
	v_cmp_ne_u32_e32 vcc, 0, v6
	v_cndmask_b32_e64 v6, 0, 1, vcc
	v_lshrrev_b32_e32 v8, 8, v7
	v_bfe_u32 v9, v7, 20, 11
	v_and_or_b32 v6, v8, s6, v6
	v_sub_u32_e32 v10, 0x3f1, v9
	v_and_or_b32 v1, v2, s7, v1
	v_cmp_ne_u32_e32 vcc, 0, v1
	v_cndmask_b32_e64 v1, 0, 1, vcc
	v_lshrrev_b32_e32 v12, 8, v2
	v_and_or_b32 v12, v12, s6, v1
	v_bfe_u32 v1, v2, 20, 11
	v_sub_u32_e32 v13, 0x3f1, v1
	v_med3_i32 v13, v13, 0, 13
	v_or_b32_e32 v14, 0x1000, v12
	v_lshrrev_b32_e32 v15, v13, v14
	v_lshlrev_b32_e32 v13, v13, v15
	v_cmp_ne_u32_e32 vcc, v13, v14
	v_cndmask_b32_e64 v13, 0, 1, vcc
	v_add_u32_e32 v14, 0xfffffc10, v1
	v_or_b32_e32 v13, v15, v13
	v_lshl_or_b32 v1, v14, 12, v12
	v_cmp_gt_i32_e32 vcc, 1, v14
	v_cndmask_b32_e32 v1, v1, v13, vcc
	v_and_b32_e32 v13, 7, v1
	v_cmp_lt_i32_e32 vcc, 5, v13
	v_cmp_eq_u32_e64 s[0:1], 3, v13
	v_lshrrev_b32_e32 v1, 2, v1
	s_or_b64 vcc, s[0:1], vcc
	v_addc_co_u32_e32 v13, vcc, 0, v1, vcc
	v_mov_b32_e32 v1, 0x7c00
	v_cmp_gt_i32_e32 vcc, 31, v14
	v_or_b32_e32 v8, 0x1000, v6
	v_med3_i32 v10, v10, 0, 13
	v_cndmask_b32_e32 v13, v1, v13, vcc
	v_cmp_ne_u32_e32 vcc, 0, v12
	v_lshrrev_b32_e32 v11, v10, v8
	v_cndmask_b32_e64 v12, 0, 1, vcc
	v_lshlrev_b32_e32 v10, v10, v11
	v_lshl_or_b32 v12, v12, 9, v1
	v_cmp_eq_u32_e32 vcc, s10, v14
	v_cndmask_b32_e32 v12, v13, v12, vcc
	v_lshrrev_b32_e32 v2, 16, v2
	v_cmp_ne_u32_e32 vcc, v10, v8
	v_and_or_b32 v12, v2, s11, v12
	v_cndmask_b32_e64 v2, 0, 1, vcc
	v_add_u32_e32 v10, 0xfffffc10, v9
	v_or_b32_e32 v2, v11, v2
	v_lshl_or_b32 v8, v10, 12, v6
	v_cmp_gt_i32_e32 vcc, 1, v10
	v_cndmask_b32_e32 v2, v8, v2, vcc
	v_and_b32_e32 v8, 7, v2
	v_cmp_lt_i32_e32 vcc, 5, v8
	v_cmp_eq_u32_e64 s[0:1], 3, v8
	v_lshrrev_b32_e32 v2, 2, v2
	s_or_b64 vcc, s[0:1], vcc
	v_addc_co_u32_e32 v2, vcc, 0, v2, vcc
	v_cmp_gt_i32_e32 vcc, 31, v10
	v_cndmask_b32_e32 v2, v1, v2, vcc
	v_cmp_ne_u32_e32 vcc, 0, v6
	v_mad_u64_u32 v[8:9], s[0:1], s8, v28, 0
	v_cndmask_b32_e64 v6, 0, 1, vcc
	v_lshl_or_b32 v6, v6, 9, v1
	v_cmp_eq_u32_e32 vcc, s10, v10
	v_cndmask_b32_e32 v2, v2, v6, vcc
	v_lshrrev_b32_e32 v6, 16, v7
	v_and_or_b32 v10, v6, s11, v2
	v_mov_b32_e32 v2, v9
	v_mad_u64_u32 v[6:7], s[0:1], s9, v28, v[2:3]
	v_lshrrev_b32_e32 v2, 16, v3
	v_mul_f16_sdwa v7, v29, v2 dst_sel:DWORD dst_unused:UNUSED_PAD src0_sel:WORD_1 src1_sel:DWORD
	v_fma_f16 v7, v29, v3, v7
	v_cvt_f32_f16_e32 v7, v7
	v_mov_b32_e32 v9, v6
	s_load_dwordx2 s[0:1], s[4:5], 0x38
	v_and_b32_e32 v11, 0xffff, v12
	v_cvt_f64_f32_e32 v[6:7], v7
	v_lshl_or_b32 v10, v10, 16, v11
	v_mul_f16_sdwa v3, v29, v3 dst_sel:DWORD dst_unused:UNUSED_PAD src0_sel:WORD_1 src1_sel:DWORD
	s_waitcnt lgkmcnt(0)
	v_mov_b32_e32 v11, s1
	v_mul_f64 v[6:7], v[6:7], s[2:3]
	v_add_co_u32_e32 v12, vcc, s0, v4
	v_addc_co_u32_e32 v11, vcc, v11, v5, vcc
	v_lshlrev_b64 v[4:5], 2, v[8:9]
	v_fma_f16 v2, v29, v2, -v3
	v_add_co_u32_e32 v4, vcc, v12, v4
	v_addc_co_u32_e32 v5, vcc, v11, v5, vcc
	v_and_or_b32 v6, v7, s7, v6
	v_cmp_ne_u32_e32 vcc, 0, v6
	v_cndmask_b32_e64 v6, 0, 1, vcc
	v_lshrrev_b32_e32 v8, 8, v7
	v_bfe_u32 v9, v7, 20, 11
	v_cvt_f32_f16_e32 v2, v2
	global_store_dword v[4:5], v10, off
	v_and_or_b32 v6, v8, s6, v6
	v_sub_u32_e32 v10, 0x3f1, v9
	v_or_b32_e32 v8, 0x1000, v6
	v_med3_i32 v10, v10, 0, 13
	v_lshrrev_b32_e32 v11, v10, v8
	v_lshlrev_b32_e32 v10, v10, v11
	v_cvt_f64_f32_e32 v[2:3], v2
	v_cmp_ne_u32_e32 vcc, v10, v8
	v_cndmask_b32_e64 v8, 0, 1, vcc
	v_add_u32_e32 v9, 0xfffffc10, v9
	v_or_b32_e32 v8, v11, v8
	v_lshl_or_b32 v10, v9, 12, v6
	v_cmp_gt_i32_e32 vcc, 1, v9
	v_cndmask_b32_e32 v8, v10, v8, vcc
	v_mul_f64 v[2:3], v[2:3], s[2:3]
	v_and_b32_e32 v10, 7, v8
	v_cmp_lt_i32_e32 vcc, 5, v10
	v_cmp_eq_u32_e64 s[0:1], 3, v10
	v_lshrrev_b32_e32 v8, 2, v8
	s_or_b64 vcc, s[0:1], vcc
	v_addc_co_u32_e32 v8, vcc, 0, v8, vcc
	v_cmp_gt_i32_e32 vcc, 31, v9
	v_cndmask_b32_e32 v8, v1, v8, vcc
	v_cmp_ne_u32_e32 vcc, 0, v6
	v_cndmask_b32_e64 v6, 0, 1, vcc
	v_lshl_or_b32 v6, v6, 9, v1
	v_cmp_eq_u32_e32 vcc, s10, v9
	v_and_or_b32 v2, v3, s7, v2
	v_cndmask_b32_e32 v6, v8, v6, vcc
	v_lshrrev_b32_e32 v7, 16, v7
	v_cmp_ne_u32_e32 vcc, 0, v2
	v_and_or_b32 v8, v7, s11, v6
	v_cndmask_b32_e64 v2, 0, 1, vcc
	v_lshrrev_b32_e32 v6, 8, v3
	v_bfe_u32 v7, v3, 20, 11
	v_and_or_b32 v2, v6, s6, v2
	v_sub_u32_e32 v9, 0x3f1, v7
	v_or_b32_e32 v6, 0x1000, v2
	v_med3_i32 v9, v9, 0, 13
	v_lshrrev_b32_e32 v10, v9, v6
	v_lshlrev_b32_e32 v9, v9, v10
	v_cmp_ne_u32_e32 vcc, v9, v6
	v_cndmask_b32_e64 v6, 0, 1, vcc
	v_add_u32_e32 v9, 0xfffffc10, v7
	v_or_b32_e32 v6, v10, v6
	v_lshl_or_b32 v7, v9, 12, v2
	v_cmp_gt_i32_e32 vcc, 1, v9
	v_cndmask_b32_e32 v6, v7, v6, vcc
	v_and_b32_e32 v7, 7, v6
	v_cmp_lt_i32_e32 vcc, 5, v7
	v_cmp_eq_u32_e64 s[0:1], 3, v7
	v_lshrrev_b32_e32 v6, 2, v6
	s_or_b64 vcc, s[0:1], vcc
	v_addc_co_u32_e32 v6, vcc, 0, v6, vcc
	v_cmp_gt_i32_e32 vcc, 31, v9
	v_cndmask_b32_e32 v10, v1, v6, vcc
	ds_read2_b32 v[6:7], v30 offset0:6 offset1:249
	v_cmp_ne_u32_e32 vcc, 0, v2
	v_cndmask_b32_e64 v2, 0, 1, vcc
	v_lshl_or_b32 v2, v2, 9, v1
	v_cmp_eq_u32_e32 vcc, s10, v9
	s_waitcnt lgkmcnt(0)
	v_lshrrev_b32_e32 v9, 16, v6
	v_cndmask_b32_e32 v2, v10, v2, vcc
	v_mul_f16_sdwa v10, v27, v9 dst_sel:DWORD dst_unused:UNUSED_PAD src0_sel:WORD_1 src1_sel:DWORD
	v_fma_f16 v10, v27, v6, v10
	v_cvt_f32_f16_e32 v10, v10
	v_lshrrev_b32_e32 v3, 16, v3
	v_and_or_b32 v2, v3, s11, v2
	v_and_b32_e32 v3, 0xffff, v8
	v_lshl_or_b32 v8, v2, 16, v3
	v_cvt_f64_f32_e32 v[2:3], v10
	s_mul_i32 s0, s9, 0x3cc
	s_mul_hi_u32 s4, s8, 0x3cc
	s_add_i32 s4, s4, s0
	v_mul_f64 v[2:3], v[2:3], s[2:3]
	s_mul_i32 s5, s8, 0x3cc
	v_mov_b32_e32 v10, s4
	v_add_co_u32_e32 v4, vcc, s5, v4
	v_addc_co_u32_e32 v5, vcc, v5, v10, vcc
	global_store_dword v[4:5], v8, off
	v_and_or_b32 v2, v3, s7, v2
	v_cmp_ne_u32_e32 vcc, 0, v2
	v_cndmask_b32_e64 v2, 0, 1, vcc
	v_lshrrev_b32_e32 v8, 8, v3
	v_bfe_u32 v10, v3, 20, 11
	v_and_or_b32 v2, v8, s6, v2
	v_sub_u32_e32 v11, 0x3f1, v10
	v_or_b32_e32 v8, 0x1000, v2
	v_med3_i32 v11, v11, 0, 13
	v_lshrrev_b32_e32 v12, v11, v8
	v_lshlrev_b32_e32 v11, v11, v12
	v_mul_f16_sdwa v6, v27, v6 dst_sel:DWORD dst_unused:UNUSED_PAD src0_sel:WORD_1 src1_sel:DWORD
	v_cmp_ne_u32_e32 vcc, v11, v8
	v_fma_f16 v6, v27, v9, -v6
	v_cndmask_b32_e64 v8, 0, 1, vcc
	v_add_u32_e32 v10, 0xfffffc10, v10
	v_cvt_f32_f16_e32 v6, v6
	v_or_b32_e32 v8, v12, v8
	v_lshl_or_b32 v11, v10, 12, v2
	v_cmp_gt_i32_e32 vcc, 1, v10
	v_cndmask_b32_e32 v8, v11, v8, vcc
	v_and_b32_e32 v11, 7, v8
	v_cmp_lt_i32_e32 vcc, 5, v11
	v_cmp_eq_u32_e64 s[0:1], 3, v11
	v_lshrrev_b32_e32 v11, 2, v8
	v_cvt_f64_f32_e32 v[8:9], v6
	s_or_b64 vcc, s[0:1], vcc
	v_addc_co_u32_e32 v6, vcc, 0, v11, vcc
	v_mul_f64 v[8:9], v[8:9], s[2:3]
	v_cmp_gt_i32_e32 vcc, 31, v10
	v_cndmask_b32_e32 v6, v1, v6, vcc
	v_cmp_ne_u32_e32 vcc, 0, v2
	v_cndmask_b32_e64 v2, 0, 1, vcc
	v_lshl_or_b32 v2, v2, 9, v1
	v_cmp_eq_u32_e32 vcc, s10, v10
	v_cndmask_b32_e32 v2, v6, v2, vcc
	v_lshrrev_b32_e32 v3, 16, v3
	v_and_or_b32 v6, v3, s11, v2
	v_and_or_b32 v2, v9, s7, v8
	v_cmp_ne_u32_e32 vcc, 0, v2
	v_cndmask_b32_e64 v2, 0, 1, vcc
	v_lshrrev_b32_e32 v3, 8, v9
	v_bfe_u32 v8, v9, 20, 11
	v_and_or_b32 v2, v3, s6, v2
	v_sub_u32_e32 v10, 0x3f1, v8
	v_or_b32_e32 v3, 0x1000, v2
	v_med3_i32 v10, v10, 0, 13
	v_lshrrev_b32_e32 v11, v10, v3
	v_lshlrev_b32_e32 v10, v10, v11
	v_cmp_ne_u32_e32 vcc, v10, v3
	v_cndmask_b32_e64 v3, 0, 1, vcc
	v_add_u32_e32 v8, 0xfffffc10, v8
	v_or_b32_e32 v3, v11, v3
	v_lshl_or_b32 v10, v8, 12, v2
	v_cmp_gt_i32_e32 vcc, 1, v8
	v_cndmask_b32_e32 v3, v10, v3, vcc
	v_and_b32_e32 v10, 7, v3
	v_cmp_lt_i32_e32 vcc, 5, v10
	v_cmp_eq_u32_e64 s[0:1], 3, v10
	v_lshrrev_b32_e32 v10, 16, v7
	v_lshrrev_b32_e32 v3, 2, v3
	s_or_b64 vcc, s[0:1], vcc
	v_mul_f16_sdwa v11, v25, v10 dst_sel:DWORD dst_unused:UNUSED_PAD src0_sel:WORD_1 src1_sel:DWORD
	v_addc_co_u32_e32 v3, vcc, 0, v3, vcc
	v_fma_f16 v11, v25, v7, v11
	v_cmp_gt_i32_e32 vcc, 31, v8
	v_cvt_f32_f16_e32 v11, v11
	v_cndmask_b32_e32 v3, v1, v3, vcc
	v_cmp_ne_u32_e32 vcc, 0, v2
	v_cndmask_b32_e64 v2, 0, 1, vcc
	v_lshl_or_b32 v2, v2, 9, v1
	v_cmp_eq_u32_e32 vcc, s10, v8
	v_cndmask_b32_e32 v8, v3, v2, vcc
	v_cvt_f64_f32_e32 v[2:3], v11
	v_lshrrev_b32_e32 v9, 16, v9
	v_and_or_b32 v8, v9, s11, v8
	v_and_b32_e32 v6, 0xffff, v6
	v_mul_f64 v[2:3], v[2:3], s[2:3]
	v_lshl_or_b32 v6, v8, 16, v6
	v_mov_b32_e32 v8, s4
	v_add_co_u32_e32 v4, vcc, s5, v4
	v_addc_co_u32_e32 v5, vcc, v5, v8, vcc
	global_store_dword v[4:5], v6, off
	v_and_or_b32 v2, v3, s7, v2
	v_cmp_ne_u32_e32 vcc, 0, v2
	v_cndmask_b32_e64 v2, 0, 1, vcc
	v_lshrrev_b32_e32 v6, 8, v3
	v_bfe_u32 v8, v3, 20, 11
	v_and_or_b32 v2, v6, s6, v2
	v_sub_u32_e32 v9, 0x3f1, v8
	v_or_b32_e32 v6, 0x1000, v2
	v_med3_i32 v9, v9, 0, 13
	v_lshrrev_b32_e32 v11, v9, v6
	v_lshlrev_b32_e32 v9, v9, v11
	v_mul_f16_sdwa v7, v25, v7 dst_sel:DWORD dst_unused:UNUSED_PAD src0_sel:WORD_1 src1_sel:DWORD
	v_cmp_ne_u32_e32 vcc, v9, v6
	v_fma_f16 v7, v25, v10, -v7
	v_cndmask_b32_e64 v6, 0, 1, vcc
	v_add_u32_e32 v8, 0xfffffc10, v8
	v_cvt_f32_f16_e32 v7, v7
	v_or_b32_e32 v6, v11, v6
	v_lshl_or_b32 v9, v8, 12, v2
	v_cmp_gt_i32_e32 vcc, 1, v8
	v_cndmask_b32_e32 v6, v9, v6, vcc
	v_and_b32_e32 v9, 7, v6
	v_cmp_lt_i32_e32 vcc, 5, v9
	v_cmp_eq_u32_e64 s[0:1], 3, v9
	v_lshrrev_b32_e32 v9, 2, v6
	v_cvt_f64_f32_e32 v[6:7], v7
	s_or_b64 vcc, s[0:1], vcc
	v_addc_co_u32_e32 v9, vcc, 0, v9, vcc
	v_mul_f64 v[6:7], v[6:7], s[2:3]
	v_cmp_gt_i32_e32 vcc, 31, v8
	v_cndmask_b32_e32 v9, v1, v9, vcc
	v_cmp_ne_u32_e32 vcc, 0, v2
	v_cndmask_b32_e64 v2, 0, 1, vcc
	v_lshl_or_b32 v2, v2, 9, v1
	v_cmp_eq_u32_e32 vcc, s10, v8
	v_cndmask_b32_e32 v2, v9, v2, vcc
	v_lshrrev_b32_e32 v3, 16, v3
	v_and_or_b32 v10, v3, s11, v2
	v_and_or_b32 v2, v7, s7, v6
	v_cmp_ne_u32_e32 vcc, 0, v2
	v_cndmask_b32_e64 v2, 0, 1, vcc
	v_lshrrev_b32_e32 v3, 8, v7
	v_and_or_b32 v6, v3, s6, v2
	v_bfe_u32 v3, v7, 20, 11
	v_sub_u32_e32 v8, 0x3f1, v3
	v_or_b32_e32 v2, 0x1000, v6
	v_med3_i32 v8, v8, 0, 13
	v_lshrrev_b32_e32 v9, v8, v2
	v_lshlrev_b32_e32 v8, v8, v9
	v_cmp_ne_u32_e32 vcc, v8, v2
	v_cndmask_b32_e64 v2, 0, 1, vcc
	v_add_u32_e32 v8, 0xfffffc10, v3
	v_or_b32_e32 v2, v9, v2
	v_lshl_or_b32 v3, v8, 12, v6
	v_cmp_gt_i32_e32 vcc, 1, v8
	v_cndmask_b32_e32 v2, v3, v2, vcc
	v_and_b32_e32 v3, 7, v2
	v_cmp_lt_i32_e32 vcc, 5, v3
	v_cmp_eq_u32_e64 s[0:1], 3, v3
	v_lshrrev_b32_e32 v2, 2, v2
	s_or_b64 vcc, s[0:1], vcc
	v_addc_co_u32_e32 v9, vcc, 0, v2, vcc
	ds_read2_b32 v[2:3], v26 offset0:12 offset1:255
	v_cmp_gt_i32_e32 vcc, 31, v8
	v_cndmask_b32_e32 v9, v1, v9, vcc
	v_cmp_ne_u32_e32 vcc, 0, v6
	v_cndmask_b32_e64 v6, 0, 1, vcc
	s_waitcnt lgkmcnt(0)
	v_lshrrev_b32_e32 v11, 16, v2
	v_mul_f16_sdwa v12, v24, v11 dst_sel:DWORD dst_unused:UNUSED_PAD src0_sel:WORD_1 src1_sel:DWORD
	v_fma_f16 v12, v24, v2, v12
	v_cvt_f32_f16_e32 v12, v12
	v_lshl_or_b32 v6, v6, 9, v1
	v_cmp_eq_u32_e32 vcc, s10, v8
	v_cndmask_b32_e32 v6, v9, v6, vcc
	v_cvt_f64_f32_e32 v[8:9], v12
	v_lshrrev_b32_e32 v7, 16, v7
	v_and_or_b32 v12, v7, s11, v6
	v_add_co_u32_e32 v4, vcc, s5, v4
	v_mul_f64 v[6:7], v[8:9], s[2:3]
	v_mov_b32_e32 v9, s4
	v_and_b32_e32 v10, 0xffff, v10
	v_addc_co_u32_e32 v5, vcc, v5, v9, vcc
	v_lshl_or_b32 v8, v12, 16, v10
	global_store_dword v[4:5], v8, off
	v_mul_f16_sdwa v2, v24, v2 dst_sel:DWORD dst_unused:UNUSED_PAD src0_sel:WORD_1 src1_sel:DWORD
	v_and_or_b32 v6, v7, s7, v6
	v_cmp_ne_u32_e32 vcc, 0, v6
	v_cndmask_b32_e64 v6, 0, 1, vcc
	v_lshrrev_b32_e32 v8, 8, v7
	v_bfe_u32 v9, v7, 20, 11
	v_and_or_b32 v6, v8, s6, v6
	v_sub_u32_e32 v10, 0x3f1, v9
	v_or_b32_e32 v8, 0x1000, v6
	v_med3_i32 v10, v10, 0, 13
	v_lshrrev_b32_e32 v12, v10, v8
	v_lshlrev_b32_e32 v10, v10, v12
	v_cmp_ne_u32_e32 vcc, v10, v8
	v_fma_f16 v2, v24, v11, -v2
	v_cndmask_b32_e64 v8, 0, 1, vcc
	v_add_u32_e32 v10, 0xfffffc10, v9
	v_cvt_f32_f16_e32 v2, v2
	v_or_b32_e32 v8, v12, v8
	v_lshl_or_b32 v9, v10, 12, v6
	v_cmp_gt_i32_e32 vcc, 1, v10
	v_cndmask_b32_e32 v8, v9, v8, vcc
	v_and_b32_e32 v9, 7, v8
	v_cmp_lt_i32_e32 vcc, 5, v9
	v_cmp_eq_u32_e64 s[0:1], 3, v9
	v_lshrrev_b32_e32 v11, 2, v8
	v_cvt_f64_f32_e32 v[8:9], v2
	s_or_b64 vcc, s[0:1], vcc
	v_addc_co_u32_e32 v2, vcc, 0, v11, vcc
	v_mul_f64 v[8:9], v[8:9], s[2:3]
	v_cmp_gt_i32_e32 vcc, 31, v10
	v_cndmask_b32_e32 v2, v1, v2, vcc
	v_cmp_ne_u32_e32 vcc, 0, v6
	v_cndmask_b32_e64 v6, 0, 1, vcc
	v_lshl_or_b32 v6, v6, 9, v1
	v_cmp_eq_u32_e32 vcc, s10, v10
	v_cndmask_b32_e32 v2, v2, v6, vcc
	v_lshrrev_b32_e32 v6, 16, v7
	v_and_or_b32 v2, v6, s11, v2
	v_and_or_b32 v6, v9, s7, v8
	v_cmp_ne_u32_e32 vcc, 0, v6
	v_cndmask_b32_e64 v6, 0, 1, vcc
	v_lshrrev_b32_e32 v7, 8, v9
	v_bfe_u32 v8, v9, 20, 11
	v_and_or_b32 v6, v7, s6, v6
	v_sub_u32_e32 v10, 0x3f1, v8
	v_or_b32_e32 v7, 0x1000, v6
	v_med3_i32 v10, v10, 0, 13
	v_lshrrev_b32_e32 v11, v10, v7
	v_lshlrev_b32_e32 v10, v10, v11
	v_cmp_ne_u32_e32 vcc, v10, v7
	v_cndmask_b32_e64 v7, 0, 1, vcc
	v_add_u32_e32 v8, 0xfffffc10, v8
	v_or_b32_e32 v7, v11, v7
	v_lshl_or_b32 v10, v8, 12, v6
	v_cmp_gt_i32_e32 vcc, 1, v8
	v_cndmask_b32_e32 v7, v10, v7, vcc
	v_and_b32_e32 v10, 7, v7
	v_cmp_lt_i32_e32 vcc, 5, v10
	v_cmp_eq_u32_e64 s[0:1], 3, v10
	v_lshrrev_b32_e32 v10, 16, v3
	v_lshrrev_b32_e32 v7, 2, v7
	s_or_b64 vcc, s[0:1], vcc
	v_mul_f16_sdwa v11, v0, v10 dst_sel:DWORD dst_unused:UNUSED_PAD src0_sel:WORD_1 src1_sel:DWORD
	v_addc_co_u32_e32 v7, vcc, 0, v7, vcc
	v_fma_f16 v11, v0, v3, v11
	v_cmp_gt_i32_e32 vcc, 31, v8
	v_cvt_f32_f16_e32 v11, v11
	v_cndmask_b32_e32 v7, v1, v7, vcc
	v_cmp_ne_u32_e32 vcc, 0, v6
	v_cndmask_b32_e64 v6, 0, 1, vcc
	v_lshl_or_b32 v6, v6, 9, v1
	v_cmp_eq_u32_e32 vcc, s10, v8
	v_cndmask_b32_e32 v8, v7, v6, vcc
	v_cvt_f64_f32_e32 v[6:7], v11
	v_lshrrev_b32_e32 v9, 16, v9
	v_and_or_b32 v8, v9, s11, v8
	v_and_b32_e32 v2, 0xffff, v2
	v_mul_f64 v[6:7], v[6:7], s[2:3]
	v_lshl_or_b32 v2, v8, 16, v2
	v_mov_b32_e32 v8, s4
	v_add_co_u32_e32 v4, vcc, s5, v4
	v_addc_co_u32_e32 v5, vcc, v5, v8, vcc
	global_store_dword v[4:5], v2, off
	v_and_or_b32 v2, v7, s7, v6
	v_cmp_ne_u32_e32 vcc, 0, v2
	v_cndmask_b32_e64 v2, 0, 1, vcc
	v_lshrrev_b32_e32 v6, 8, v7
	v_bfe_u32 v8, v7, 20, 11
	v_and_or_b32 v6, v6, s6, v2
	v_sub_u32_e32 v9, 0x3f1, v8
	v_or_b32_e32 v2, 0x1000, v6
	v_med3_i32 v9, v9, 0, 13
	v_lshrrev_b32_e32 v11, v9, v2
	v_lshlrev_b32_e32 v9, v9, v11
	v_mul_f16_sdwa v3, v0, v3 dst_sel:DWORD dst_unused:UNUSED_PAD src0_sel:WORD_1 src1_sel:DWORD
	v_cmp_ne_u32_e32 vcc, v9, v2
	v_fma_f16 v0, v0, v10, -v3
	v_cndmask_b32_e64 v2, 0, 1, vcc
	v_add_u32_e32 v8, 0xfffffc10, v8
	v_cvt_f32_f16_e32 v0, v0
	v_or_b32_e32 v2, v11, v2
	v_lshl_or_b32 v9, v8, 12, v6
	v_cmp_gt_i32_e32 vcc, 1, v8
	v_cndmask_b32_e32 v2, v9, v2, vcc
	v_and_b32_e32 v9, 7, v2
	v_cmp_lt_i32_e32 vcc, 5, v9
	v_cmp_eq_u32_e64 s[0:1], 3, v9
	v_lshrrev_b32_e32 v9, 2, v2
	v_cvt_f64_f32_e32 v[2:3], v0
	s_or_b64 vcc, s[0:1], vcc
	v_addc_co_u32_e32 v0, vcc, 0, v9, vcc
	v_mul_f64 v[2:3], v[2:3], s[2:3]
	v_cmp_gt_i32_e32 vcc, 31, v8
	v_cndmask_b32_e32 v0, v1, v0, vcc
	v_cmp_ne_u32_e32 vcc, 0, v6
	v_cndmask_b32_e64 v6, 0, 1, vcc
	v_lshl_or_b32 v6, v6, 9, v1
	v_cmp_eq_u32_e32 vcc, s10, v8
	v_cndmask_b32_e32 v0, v0, v6, vcc
	v_and_or_b32 v2, v3, s7, v2
	v_lshrrev_b32_e32 v6, 16, v7
	v_cmp_ne_u32_e32 vcc, 0, v2
	v_and_or_b32 v0, v6, s11, v0
	v_cndmask_b32_e64 v2, 0, 1, vcc
	v_lshrrev_b32_e32 v6, 8, v3
	v_bfe_u32 v7, v3, 20, 11
	v_and_or_b32 v2, v6, s6, v2
	v_sub_u32_e32 v8, 0x3f1, v7
	v_or_b32_e32 v6, 0x1000, v2
	v_med3_i32 v8, v8, 0, 13
	v_lshrrev_b32_e32 v9, v8, v6
	v_lshlrev_b32_e32 v8, v8, v9
	v_cmp_ne_u32_e32 vcc, v8, v6
	v_cndmask_b32_e64 v6, 0, 1, vcc
	v_add_u32_e32 v7, 0xfffffc10, v7
	v_or_b32_e32 v6, v9, v6
	v_lshl_or_b32 v8, v7, 12, v2
	v_cmp_gt_i32_e32 vcc, 1, v7
	v_cndmask_b32_e32 v6, v8, v6, vcc
	v_and_b32_e32 v8, 7, v6
	v_cmp_lt_i32_e32 vcc, 5, v8
	v_cmp_eq_u32_e64 s[0:1], 3, v8
	v_lshrrev_b32_e32 v6, 2, v6
	s_or_b64 vcc, s[0:1], vcc
	v_addc_co_u32_e32 v6, vcc, 0, v6, vcc
	v_cmp_gt_i32_e32 vcc, 31, v7
	v_cndmask_b32_e32 v6, v1, v6, vcc
	v_cmp_ne_u32_e32 vcc, 0, v2
	v_cndmask_b32_e64 v2, 0, 1, vcc
	v_lshl_or_b32 v1, v2, 9, v1
	v_cmp_eq_u32_e32 vcc, s10, v7
	v_cndmask_b32_e32 v1, v6, v1, vcc
	v_lshrrev_b32_e32 v2, 16, v3
	v_and_or_b32 v1, v2, s11, v1
	v_and_b32_e32 v0, 0xffff, v0
	v_lshl_or_b32 v2, v1, 16, v0
	v_mov_b32_e32 v1, s4
	v_add_co_u32_e32 v0, vcc, s5, v4
	v_addc_co_u32_e32 v1, vcc, v5, v1, vcc
	global_store_dword v[0:1], v2, off
.LBB0_2:
	s_endpgm
	.section	.rodata,"a",@progbits
	.p2align	6, 0x0
	.amdhsa_kernel bluestein_single_fwd_len1458_dim1_half_op_CI_CI
		.amdhsa_group_segment_fixed_size 5832
		.amdhsa_private_segment_fixed_size 0
		.amdhsa_kernarg_size 104
		.amdhsa_user_sgpr_count 6
		.amdhsa_user_sgpr_private_segment_buffer 1
		.amdhsa_user_sgpr_dispatch_ptr 0
		.amdhsa_user_sgpr_queue_ptr 0
		.amdhsa_user_sgpr_kernarg_segment_ptr 1
		.amdhsa_user_sgpr_dispatch_id 0
		.amdhsa_user_sgpr_flat_scratch_init 0
		.amdhsa_user_sgpr_private_segment_size 0
		.amdhsa_uses_dynamic_stack 0
		.amdhsa_system_sgpr_private_segment_wavefront_offset 0
		.amdhsa_system_sgpr_workgroup_id_x 1
		.amdhsa_system_sgpr_workgroup_id_y 0
		.amdhsa_system_sgpr_workgroup_id_z 0
		.amdhsa_system_sgpr_workgroup_info 0
		.amdhsa_system_vgpr_workitem_id 0
		.amdhsa_next_free_vgpr 58
		.amdhsa_next_free_sgpr 20
		.amdhsa_reserve_vcc 1
		.amdhsa_reserve_flat_scratch 0
		.amdhsa_float_round_mode_32 0
		.amdhsa_float_round_mode_16_64 0
		.amdhsa_float_denorm_mode_32 3
		.amdhsa_float_denorm_mode_16_64 3
		.amdhsa_dx10_clamp 1
		.amdhsa_ieee_mode 1
		.amdhsa_fp16_overflow 0
		.amdhsa_exception_fp_ieee_invalid_op 0
		.amdhsa_exception_fp_denorm_src 0
		.amdhsa_exception_fp_ieee_div_zero 0
		.amdhsa_exception_fp_ieee_overflow 0
		.amdhsa_exception_fp_ieee_underflow 0
		.amdhsa_exception_fp_ieee_inexact 0
		.amdhsa_exception_int_div_zero 0
	.end_amdhsa_kernel
	.text
.Lfunc_end0:
	.size	bluestein_single_fwd_len1458_dim1_half_op_CI_CI, .Lfunc_end0-bluestein_single_fwd_len1458_dim1_half_op_CI_CI
                                        ; -- End function
	.section	.AMDGPU.csdata,"",@progbits
; Kernel info:
; codeLenInByte = 9880
; NumSgprs: 24
; NumVgprs: 58
; ScratchSize: 0
; MemoryBound: 0
; FloatMode: 240
; IeeeMode: 1
; LDSByteSize: 5832 bytes/workgroup (compile time only)
; SGPRBlocks: 2
; VGPRBlocks: 14
; NumSGPRsForWavesPerEU: 24
; NumVGPRsForWavesPerEU: 58
; Occupancy: 4
; WaveLimiterHint : 1
; COMPUTE_PGM_RSRC2:SCRATCH_EN: 0
; COMPUTE_PGM_RSRC2:USER_SGPR: 6
; COMPUTE_PGM_RSRC2:TRAP_HANDLER: 0
; COMPUTE_PGM_RSRC2:TGID_X_EN: 1
; COMPUTE_PGM_RSRC2:TGID_Y_EN: 0
; COMPUTE_PGM_RSRC2:TGID_Z_EN: 0
; COMPUTE_PGM_RSRC2:TIDIG_COMP_CNT: 0
	.type	__hip_cuid_793eb6d0113002c1,@object ; @__hip_cuid_793eb6d0113002c1
	.section	.bss,"aw",@nobits
	.globl	__hip_cuid_793eb6d0113002c1
__hip_cuid_793eb6d0113002c1:
	.byte	0                               ; 0x0
	.size	__hip_cuid_793eb6d0113002c1, 1

	.ident	"AMD clang version 19.0.0git (https://github.com/RadeonOpenCompute/llvm-project roc-6.4.0 25133 c7fe45cf4b819c5991fe208aaa96edf142730f1d)"
	.section	".note.GNU-stack","",@progbits
	.addrsig
	.addrsig_sym __hip_cuid_793eb6d0113002c1
	.amdgpu_metadata
---
amdhsa.kernels:
  - .args:
      - .actual_access:  read_only
        .address_space:  global
        .offset:         0
        .size:           8
        .value_kind:     global_buffer
      - .actual_access:  read_only
        .address_space:  global
        .offset:         8
        .size:           8
        .value_kind:     global_buffer
      - .actual_access:  read_only
        .address_space:  global
        .offset:         16
        .size:           8
        .value_kind:     global_buffer
      - .actual_access:  read_only
        .address_space:  global
        .offset:         24
        .size:           8
        .value_kind:     global_buffer
      - .actual_access:  read_only
        .address_space:  global
        .offset:         32
        .size:           8
        .value_kind:     global_buffer
      - .offset:         40
        .size:           8
        .value_kind:     by_value
      - .address_space:  global
        .offset:         48
        .size:           8
        .value_kind:     global_buffer
      - .address_space:  global
        .offset:         56
        .size:           8
        .value_kind:     global_buffer
      - .address_space:  global
        .offset:         64
        .size:           8
        .value_kind:     global_buffer
      - .address_space:  global
        .offset:         72
        .size:           8
        .value_kind:     global_buffer
      - .offset:         80
        .size:           4
        .value_kind:     by_value
      - .address_space:  global
        .offset:         88
        .size:           8
        .value_kind:     global_buffer
      - .address_space:  global
        .offset:         96
        .size:           8
        .value_kind:     global_buffer
    .group_segment_fixed_size: 5832
    .kernarg_segment_align: 8
    .kernarg_segment_size: 104
    .language:       OpenCL C
    .language_version:
      - 2
      - 0
    .max_flat_workgroup_size: 243
    .name:           bluestein_single_fwd_len1458_dim1_half_op_CI_CI
    .private_segment_fixed_size: 0
    .sgpr_count:     24
    .sgpr_spill_count: 0
    .symbol:         bluestein_single_fwd_len1458_dim1_half_op_CI_CI.kd
    .uniform_work_group_size: 1
    .uses_dynamic_stack: false
    .vgpr_count:     58
    .vgpr_spill_count: 0
    .wavefront_size: 64
amdhsa.target:   amdgcn-amd-amdhsa--gfx906
amdhsa.version:
  - 1
  - 2
...

	.end_amdgpu_metadata
